;; amdgpu-corpus repo=ROCm/rocFFT kind=compiled arch=gfx1201 opt=O3
	.text
	.amdgcn_target "amdgcn-amd-amdhsa--gfx1201"
	.amdhsa_code_object_version 6
	.protected	bluestein_single_back_len1210_dim1_sp_op_CI_CI ; -- Begin function bluestein_single_back_len1210_dim1_sp_op_CI_CI
	.globl	bluestein_single_back_len1210_dim1_sp_op_CI_CI
	.p2align	8
	.type	bluestein_single_back_len1210_dim1_sp_op_CI_CI,@function
bluestein_single_back_len1210_dim1_sp_op_CI_CI: ; @bluestein_single_back_len1210_dim1_sp_op_CI_CI
; %bb.0:
	s_load_b128 s[8:11], s[0:1], 0x28
	v_mul_u32_u24_e32 v1, 0x254, v0
	s_mov_b32 s2, exec_lo
	v_mov_b32_e32 v77, 0
	s_delay_alu instid0(VALU_DEP_2) | instskip(NEXT) | instid1(VALU_DEP_1)
	v_lshrrev_b32_e32 v1, 16, v1
	v_add_nc_u32_e32 v76, ttmp9, v1
	s_wait_kmcnt 0x0
	s_delay_alu instid0(VALU_DEP_1)
	v_cmpx_gt_u64_e64 s[8:9], v[76:77]
	s_cbranch_execz .LBB0_23
; %bb.1:
	s_clause 0x1
	s_load_b128 s[4:7], s[0:1], 0x18
	s_load_b64 s[16:17], s[0:1], 0x0
	v_mul_lo_u16 v1, 0x6e, v1
	s_movk_i32 s2, 0xfe11
	s_mov_b32 s3, -1
	s_delay_alu instid0(VALU_DEP_1) | instskip(NEXT) | instid1(VALU_DEP_1)
	v_sub_nc_u16 v28, v0, v1
	v_and_b32_e32 v102, 0xffff, v28
	s_wait_kmcnt 0x0
	s_load_b128 s[12:15], s[4:5], 0x0
	s_wait_kmcnt 0x0
	v_mad_co_u64_u32 v[0:1], null, s14, v76, 0
	v_mad_co_u64_u32 v[2:3], null, s12, v102, 0
	s_mul_u64 s[4:5], s[12:13], 0x25d
	s_mul_u64 s[2:3], s[12:13], s[2:3]
	s_delay_alu instid0(SALU_CYCLE_1) | instskip(NEXT) | instid1(VALU_DEP_1)
	s_lshl_b64 s[2:3], s[2:3], 3
	v_mad_co_u64_u32 v[4:5], null, s15, v76, v[1:2]
	s_delay_alu instid0(VALU_DEP_1) | instskip(NEXT) | instid1(VALU_DEP_3)
	v_mov_b32_e32 v1, v4
	v_mad_co_u64_u32 v[5:6], null, s13, v102, v[3:4]
	v_lshlrev_b32_e32 v101, 3, v102
	s_clause 0x2
	global_load_b64 v[91:92], v101, s[16:17] offset:4840
	global_load_b64 v[79:80], v101, s[16:17] offset:5720
	;; [unrolled: 1-line block ×3, first 2 shown]
	v_mov_b32_e32 v3, v5
	v_lshlrev_b64_e32 v[0:1], 3, v[0:1]
	s_clause 0x3
	global_load_b64 v[97:98], v101, s[16:17]
	global_load_b64 v[89:90], v101, s[16:17] offset:880
	global_load_b64 v[87:88], v101, s[16:17] offset:1760
	;; [unrolled: 1-line block ×3, first 2 shown]
	v_lshlrev_b64_e32 v[2:3], 3, v[2:3]
	v_add_co_u32 v0, vcc_lo, s10, v0
	v_add_co_ci_u32_e32 v1, vcc_lo, s11, v1, vcc_lo
	s_lshl_b64 s[10:11], s[4:5], 3
	s_delay_alu instid0(VALU_DEP_2) | instskip(SKIP_1) | instid1(VALU_DEP_2)
	v_add_co_u32 v0, vcc_lo, v0, v2
	s_wait_alu 0xfffd
	v_add_co_ci_u32_e32 v1, vcc_lo, v1, v3, vcc_lo
	s_wait_alu 0xfffe
	s_delay_alu instid0(VALU_DEP_2) | instskip(SKIP_1) | instid1(VALU_DEP_2)
	v_add_co_u32 v2, vcc_lo, v0, s10
	s_wait_alu 0xfffd
	v_add_co_ci_u32_e32 v3, vcc_lo, s11, v1, vcc_lo
	s_delay_alu instid0(VALU_DEP_2) | instskip(SKIP_1) | instid1(VALU_DEP_2)
	v_add_co_u32 v4, vcc_lo, v2, s2
	s_wait_alu 0xfffd
	v_add_co_ci_u32_e32 v5, vcc_lo, s3, v3, vcc_lo
	s_clause 0x1
	global_load_b64 v[6:7], v[0:1], off
	global_load_b64 v[2:3], v[2:3], off
	v_add_co_u32 v0, vcc_lo, v4, s10
	s_wait_alu 0xfffd
	v_add_co_ci_u32_e32 v1, vcc_lo, s11, v5, vcc_lo
	s_delay_alu instid0(VALU_DEP_2) | instskip(SKIP_1) | instid1(VALU_DEP_2)
	v_add_co_u32 v8, vcc_lo, v0, s2
	s_wait_alu 0xfffd
	v_add_co_ci_u32_e32 v9, vcc_lo, s3, v1, vcc_lo
	s_wait_loadcnt 0x1
	v_mul_f32_e32 v26, v7, v98
	s_wait_loadcnt 0x0
	v_mul_f32_e32 v24, v3, v92
	global_load_b64 v[83:84], v101, s[16:17] offset:7480
	s_clause 0x1
	global_load_b64 v[4:5], v[4:5], off
	global_load_b64 v[10:11], v[0:1], off
	v_add_co_u32 v0, vcc_lo, v8, s10
	s_wait_alu 0xfffd
	v_add_co_ci_u32_e32 v1, vcc_lo, s11, v9, vcc_lo
	global_load_b64 v[12:13], v[8:9], off
	v_add_co_u32 v8, vcc_lo, v0, s2
	s_wait_alu 0xfffd
	v_add_co_ci_u32_e32 v9, vcc_lo, s3, v1, vcc_lo
	;; [unrolled: 4-line block ×5, first 2 shown]
	global_load_b64 v[93:94], v101, s[16:17] offset:3520
	global_load_b64 v[20:21], v[8:9], off
	global_load_b64 v[95:96], v101, s[16:17] offset:8360
	global_load_b64 v[22:23], v[0:1], off
	v_add_nc_u32_e32 v8, 0x400, v101
	v_add_nc_u32_e32 v9, 0x1400, v101
	v_mul_f32_e32 v25, v2, v92
	v_fmac_f32_e32 v24, v2, v91
	v_fmac_f32_e32 v26, v6, v97
	s_load_b64 s[8:9], s[0:1], 0x38
	s_load_b128 s[4:7], s[6:7], 0x0
	v_add_co_u32 v77, s12, s16, v101
	s_wait_alu 0xf1ff
	v_add_co_ci_u32_e64 v78, null, s17, 0, s12
	v_cmp_gt_u16_e32 vcc_lo, 55, v28
	s_wait_loadcnt 0x9
	v_mul_f32_e32 v2, v5, v90
	v_mul_f32_e32 v27, v6, v98
	v_mul_f32_e32 v29, v4, v90
	v_fma_f32 v25, v3, v91, -v25
	s_delay_alu instid0(VALU_DEP_4) | instskip(NEXT) | instid1(VALU_DEP_4)
	v_fmac_f32_e32 v2, v4, v89
	v_fma_f32 v27, v7, v97, -v27
	s_delay_alu instid0(VALU_DEP_4)
	v_fma_f32 v3, v5, v89, -v29
	ds_store_b64 v101, v[24:25] offset:4840
	s_wait_loadcnt 0x8
	v_mul_f32_e32 v4, v11, v80
	s_wait_loadcnt 0x7
	v_mul_f32_e32 v6, v13, v88
	v_mul_f32_e32 v5, v10, v80
	ds_store_2addr_b64 v101, v[26:27], v[2:3] offset1:110
	v_mul_f32_e32 v3, v12, v88
	v_fmac_f32_e32 v6, v12, v87
	v_fma_f32 v5, v11, v79, -v5
	s_wait_loadcnt 0x5
	v_mul_f32_e32 v11, v16, v86
	v_fma_f32 v7, v13, v87, -v3
	v_mul_f32_e32 v3, v14, v82
	s_wait_loadcnt 0x4
	v_dual_fmac_f32 v4, v10, v79 :: v_dual_mul_f32 v13, v19, v84
	v_mul_f32_e32 v2, v15, v82
	v_mul_f32_e32 v10, v17, v86
	v_fma_f32 v3, v15, v81, -v3
	s_wait_loadcnt 0x2
	v_dual_mul_f32 v15, v21, v94 :: v_dual_mul_f32 v12, v18, v84
	v_fmac_f32_e32 v13, v18, v83
	v_fmac_f32_e32 v2, v14, v81
	v_fma_f32 v11, v17, v85, -v11
	s_wait_loadcnt 0x0
	v_dual_mul_f32 v17, v23, v96 :: v_dual_fmac_f32 v10, v16, v85
	v_mul_f32_e32 v16, v20, v94
	v_dual_mul_f32 v18, v22, v96 :: v_dual_fmac_f32 v15, v20, v93
	s_delay_alu instid0(VALU_DEP_3)
	v_fmac_f32_e32 v17, v22, v95
	v_fma_f32 v14, v19, v83, -v12
	v_add_nc_u32_e32 v12, 0x1c00, v101
	v_fma_f32 v16, v21, v93, -v16
	v_fma_f32 v18, v23, v95, -v18
	ds_store_2addr_b64 v9, v[4:5], v[2:3] offset0:75 offset1:185
	ds_store_2addr_b64 v8, v[6:7], v[10:11] offset0:92 offset1:202
	ds_store_b64 v101, v[15:16] offset:3520
	ds_store_2addr_b64 v12, v[13:14], v[17:18] offset0:39 offset1:149
	s_and_saveexec_b32 s12, vcc_lo
	s_cbranch_execz .LBB0_3
; %bb.2:
	v_add_co_u32 v0, s2, v0, s2
	s_wait_alu 0xf1ff
	v_add_co_ci_u32_e64 v1, s2, s3, v1, s2
	s_delay_alu instid0(VALU_DEP_2) | instskip(SKIP_1) | instid1(VALU_DEP_2)
	v_add_co_u32 v2, s2, v0, s10
	s_wait_alu 0xf1ff
	v_add_co_ci_u32_e64 v3, s2, s11, v1, s2
	global_load_b64 v[0:1], v[0:1], off
	s_clause 0x1
	global_load_b64 v[4:5], v[77:78], off offset:4400
	global_load_b64 v[6:7], v[77:78], off offset:9240
	global_load_b64 v[2:3], v[2:3], off
	s_wait_loadcnt 0x2
	v_mul_f32_e32 v10, v1, v5
	v_mul_f32_e32 v11, v0, v5
	s_wait_loadcnt 0x0
	v_mul_f32_e32 v5, v3, v7
	s_delay_alu instid0(VALU_DEP_3) | instskip(NEXT) | instid1(VALU_DEP_3)
	v_dual_mul_f32 v7, v2, v7 :: v_dual_fmac_f32 v10, v0, v4
	v_fma_f32 v11, v1, v4, -v11
	s_delay_alu instid0(VALU_DEP_3) | instskip(NEXT) | instid1(VALU_DEP_3)
	v_fmac_f32_e32 v5, v2, v6
	v_fma_f32 v6, v3, v6, -v7
	ds_store_b64 v101, v[10:11] offset:4400
	ds_store_b64 v101, v[5:6] offset:9240
.LBB0_3:
	s_wait_alu 0xfffe
	s_or_b32 exec_lo, exec_lo, s12
	v_add_nc_u32_e32 v0, 0xc00, v101
	global_wb scope:SCOPE_SE
	s_wait_dscnt 0x0
	s_wait_kmcnt 0x0
	s_barrier_signal -1
	s_barrier_wait -1
	global_inv scope:SCOPE_SE
	ds_load_2addr_b64 v[4:7], v101 offset1:110
	ds_load_2addr_b64 v[0:3], v0 offset0:56 offset1:221
	ds_load_2addr_b64 v[16:19], v9 offset0:75 offset1:185
	;; [unrolled: 1-line block ×4, first 2 shown]
                                        ; implicit-def: $vgpr22
                                        ; implicit-def: $vgpr20
	s_and_saveexec_b32 s2, vcc_lo
	s_cbranch_execz .LBB0_5
; %bb.4:
	ds_load_b64 v[20:21], v101 offset:4400
	ds_load_b64 v[22:23], v101 offset:9240
.LBB0_5:
	s_wait_alu 0xfffe
	s_or_b32 exec_lo, exec_lo, s2
	s_load_b64 s[2:3], s[0:1], 0x8
	s_wait_dscnt 0x2
	v_dual_sub_f32 v30, v6, v16 :: v_dual_lshlrev_b32 v109, 4, v102
	v_dual_sub_f32 v26, v4, v2 :: v_dual_sub_f32 v27, v5, v3
	s_wait_dscnt 0x0
	v_dual_sub_f32 v31, v7, v17 :: v_dual_sub_f32 v14, v0, v14
	s_delay_alu instid0(VALU_DEP_3) | instskip(NEXT) | instid1(VALU_DEP_3)
	v_fma_f32 v28, v6, 2.0, -v30
	v_fma_f32 v24, v4, 2.0, -v26
	v_sub_f32_e32 v4, v8, v18
	v_fma_f32 v25, v5, 2.0, -v27
	v_dual_sub_f32 v5, v9, v19 :: v_dual_sub_f32 v18, v10, v12
	v_sub_f32_e32 v19, v11, v13
	v_lshlrev_b16 v6, 1, v102
	v_add_co_u32 v39, null, 0x6e, v102
	v_add_co_u32 v38, null, 0xdc, v102
	;; [unrolled: 1-line block ×3, first 2 shown]
	v_fma_f32 v16, v10, 2.0, -v18
	v_fma_f32 v17, v11, 2.0, -v19
	v_dual_sub_f32 v15, v1, v15 :: v_dual_sub_f32 v10, v20, v22
	v_sub_f32_e32 v11, v21, v23
	v_fma_f32 v12, v0, 2.0, -v14
	v_and_b32_e32 v0, 0xffff, v6
	v_fma_f32 v29, v7, 2.0, -v31
	v_fma_f32 v2, v8, 2.0, -v4
	;; [unrolled: 1-line block ×5, first 2 shown]
	v_lshlrev_b32_e32 v105, 3, v0
	v_lshlrev_b32_e32 v107, 4, v39
	;; [unrolled: 1-line block ×4, first 2 shown]
	v_fma_f32 v13, v1, 2.0, -v15
	global_wb scope:SCOPE_SE
	s_wait_kmcnt 0x0
	s_barrier_signal -1
	s_barrier_wait -1
	global_inv scope:SCOPE_SE
	ds_store_b128 v105, v[24:27]
	ds_store_b128 v107, v[28:31]
	;; [unrolled: 1-line block ×3, first 2 shown]
	ds_store_b128 v109, v[16:19] offset:5280
	ds_store_b128 v109, v[12:15] offset:7040
	s_and_saveexec_b32 s0, vcc_lo
	s_cbranch_execz .LBB0_7
; %bb.6:
	ds_store_b128 v106, v[8:11]
.LBB0_7:
	s_wait_alu 0xfffe
	s_or_b32 exec_lo, exec_lo, s0
	v_add_nc_u32_e32 v0, 0x400, v101
	v_add_nc_u32_e32 v1, 0xc00, v101
	v_add_nc_u32_e32 v2, 0x1400, v101
	v_add_nc_u32_e32 v3, 0x1c00, v101
	global_wb scope:SCOPE_SE
	s_wait_dscnt 0x0
	s_barrier_signal -1
	s_barrier_wait -1
	global_inv scope:SCOPE_SE
	ds_load_2addr_b64 v[12:15], v101 offset1:110
	ds_load_2addr_b64 v[28:31], v0 offset0:114 offset1:224
	ds_load_2addr_b64 v[24:27], v1 offset0:100 offset1:210
	;; [unrolled: 1-line block ×4, first 2 shown]
	v_cmp_gt_u16_e64 s0, 22, v102
                                        ; implicit-def: $vgpr32
                                        ; implicit-def: $vgpr36
	s_delay_alu instid0(VALU_DEP_1)
	s_and_saveexec_b32 s1, s0
	s_cbranch_execz .LBB0_9
; %bb.8:
	v_add_nc_u32_e32 v0, 0x680, v101
	v_add_nc_u32_e32 v1, 0x1600, v101
	ds_load_2addr_b64 v[8:11], v0 offset0:12 offset1:254
	ds_load_2addr_b64 v[32:35], v1 offset1:242
	ds_load_b64 v[36:37], v101 offset:9504
.LBB0_9:
	s_wait_alu 0xfffe
	s_or_b32 exec_lo, exec_lo, s1
	v_and_b32_e32 v103, 1, v102
	v_lshrrev_b32_e32 v40, 1, v102
	v_lshrrev_b32_e32 v39, 1, v39
	;; [unrolled: 1-line block ×3, first 2 shown]
	s_delay_alu instid0(VALU_DEP_4) | instskip(NEXT) | instid1(VALU_DEP_4)
	v_lshlrev_b32_e32 v0, 5, v103
	v_mul_u32_u24_e32 v40, 10, v40
	s_delay_alu instid0(VALU_DEP_4)
	v_mul_u32_u24_e32 v39, 10, v39
	s_clause 0x1
	global_load_b128 v[4:7], v0, s[2:3]
	global_load_b128 v[0:3], v0, s[2:3] offset:16
	global_wb scope:SCOPE_SE
	s_wait_loadcnt_dscnt 0x0
	s_barrier_signal -1
	s_barrier_wait -1
	global_inv scope:SCOPE_SE
	v_mul_f32_e32 v43, v28, v5
	v_mul_f32_e32 v42, v29, v5
	v_or_b32_e32 v38, v40, v103
	v_or_b32_e32 v39, v39, v103
	v_dual_mul_f32 v45, v24, v7 :: v_dual_mul_f32 v46, v21, v1
	s_delay_alu instid0(VALU_DEP_3) | instskip(NEXT) | instid1(VALU_DEP_3)
	v_dual_mul_f32 v44, v25, v7 :: v_dual_lshlrev_b32 v111, 3, v38
	v_dual_mul_f32 v47, v20, v1 :: v_dual_lshlrev_b32 v110, 3, v39
	v_dual_mul_f32 v48, v17, v3 :: v_dual_mul_f32 v51, v30, v5
	v_dual_mul_f32 v49, v16, v3 :: v_dual_mul_f32 v50, v31, v5
	;; [unrolled: 1-line block ×8, first 2 shown]
	v_dual_mul_f32 v38, v36, v3 :: v_dual_fmac_f32 v43, v29, v4
	v_fma_f32 v28, v28, v4, -v42
	v_mul_f32_e32 v61, v37, v3
	v_fma_f32 v24, v24, v6, -v44
	v_fmac_f32_e32 v45, v25, v6
	v_fma_f32 v25, v20, v0, -v46
	v_fmac_f32_e32 v47, v21, v0
	;; [unrolled: 2-line block ×3, first 2 shown]
	v_fma_f32 v20, v30, v4, -v50
	v_dual_fmac_f32 v51, v31, v4 :: v_dual_fmac_f32 v40, v33, v6
	v_fma_f32 v21, v26, v6, -v52
	v_fma_f32 v26, v22, v0, -v54
	v_dual_fmac_f32 v55, v23, v0 :: v_dual_fmac_f32 v38, v37, v2
	v_fma_f32 v44, v18, v2, -v56
	v_fma_f32 v17, v10, v4, -v58
	v_dual_fmac_f32 v41, v11, v4 :: v_dual_sub_f32 v30, v25, v42
	v_fma_f32 v16, v32, v6, -v59
	v_fma_f32 v11, v34, v0, -v60
	v_dual_fmac_f32 v39, v35, v0 :: v_dual_add_f32 v52, v21, v26
	v_add_f32_e32 v18, v12, v28
	v_fma_f32 v10, v36, v2, -v61
	v_sub_f32_e32 v22, v28, v24
	v_dual_sub_f32 v46, v24, v25 :: v_dual_fmac_f32 v53, v27, v6
	v_dual_sub_f32 v36, v45, v47 :: v_dual_fmac_f32 v57, v19, v2
	v_dual_add_f32 v32, v45, v47 :: v_dual_add_f32 v19, v24, v25
	v_add_f32_e32 v50, v14, v20
	v_dual_sub_f32 v23, v42, v25 :: v_dual_add_f32 v60, v20, v44
	v_add_f32_e32 v27, v28, v42
	v_sub_f32_e32 v29, v24, v28
	v_dual_add_f32 v31, v13, v43 :: v_dual_sub_f32 v54, v51, v57
	v_dual_sub_f32 v37, v28, v42 :: v_dual_sub_f32 v62, v26, v44
	v_dual_sub_f32 v28, v43, v45 :: v_dual_sub_f32 v33, v49, v47
	v_sub_f32_e32 v58, v20, v21
	v_dual_add_f32 v34, v43, v49 :: v_dual_sub_f32 v59, v44, v26
	v_add_f32_e32 v64, v53, v55
	v_dual_add_f32 v63, v15, v51 :: v_dual_sub_f32 v66, v21, v26
	v_dual_add_f32 v71, v16, v11 :: v_dual_add_f32 v100, v17, v10
	v_dual_sub_f32 v113, v11, v10 :: v_dual_add_f32 v114, v40, v39
	v_dual_add_f32 v119, v41, v38 :: v_dual_add_f32 v122, v22, v23
	v_dual_add_f32 v69, v51, v57 :: v_dual_sub_f32 v72, v17, v16
	v_dual_sub_f32 v35, v43, v49 :: v_dual_sub_f32 v56, v53, v55
	v_dual_sub_f32 v43, v45, v43 :: v_dual_sub_f32 v70, v55, v57
	;; [unrolled: 1-line block ×3, first 2 shown]
	v_sub_f32_e32 v112, v16, v17
	v_dual_sub_f32 v65, v20, v44 :: v_dual_sub_f32 v68, v57, v55
	v_dual_sub_f32 v67, v51, v53 :: v_dual_sub_f32 v74, v41, v38
	v_dual_sub_f32 v75, v40, v39 :: v_dual_add_f32 v24, v18, v24
	v_sub_f32_e32 v73, v10, v11
	v_dual_sub_f32 v115, v17, v10 :: v_dual_sub_f32 v116, v16, v11
	v_dual_sub_f32 v117, v41, v40 :: v_dual_sub_f32 v118, v38, v39
	v_fma_f32 v18, -0.5, v19, v12
	v_add_f32_e32 v123, v29, v30
	v_fma_f32 v12, -0.5, v27, v12
	v_add_f32_e32 v23, v31, v45
	v_fma_f32 v19, -0.5, v32, v13
	v_add_f32_e32 v45, v28, v33
	v_fma_f32 v13, -0.5, v34, v13
	v_dual_add_f32 v27, v50, v21 :: v_dual_fmamk_f32 v22, v35, 0x3f737871, v18
	v_add_f32_e32 v28, v63, v53
	v_fma_f32 v21, -0.5, v64, v15
	v_fma_f32 v99, -0.5, v71, v8
	;; [unrolled: 1-line block ×7, first 2 shown]
	v_fmac_f32_e32 v15, -0.5, v69
	v_dual_sub_f32 v51, v53, v51 :: v_dual_sub_f32 v120, v40, v41
	v_sub_f32_e32 v121, v39, v38
	v_dual_add_f32 v43, v43, v48 :: v_dual_add_f32 v48, v58, v59
	v_add_f32_e32 v58, v112, v113
	v_dual_add_f32 v50, v61, v62 :: v_dual_add_f32 v53, v72, v73
	v_dual_add_f32 v59, v117, v118 :: v_dual_add_f32 v34, v24, v25
	v_fmac_f32_e32 v18, 0xbf737871, v35
	v_add_f32_e32 v47, v23, v47
	v_fmamk_f32 v23, v37, 0xbf737871, v19
	v_fmamk_f32 v25, v46, 0x3f737871, v13
	v_dual_add_f32 v61, v27, v26 :: v_dual_fmamk_f32 v72, v74, 0x3f737871, v99
	v_dual_add_f32 v55, v28, v55 :: v_dual_fmamk_f32 v28, v75, 0xbf737871, v30
	v_dual_fmamk_f32 v27, v65, 0xbf737871, v21 :: v_dual_add_f32 v34, v34, v42
	v_fmac_f32_e32 v21, 0x3f737871, v65
	v_fmac_f32_e32 v99, 0xbf737871, v74
	;; [unrolled: 1-line block ×3, first 2 shown]
	v_fmamk_f32 v73, v115, 0xbf737871, v100
	v_dual_fmac_f32 v100, 0x3f737871, v115 :: v_dual_fmamk_f32 v29, v116, 0x3f737871, v31
	v_dual_fmac_f32 v31, 0xbf737871, v116 :: v_dual_fmamk_f32 v24, v36, 0xbf737871, v12
	v_fmac_f32_e32 v12, 0x3f737871, v36
	v_dual_fmac_f32 v13, 0xbf737871, v46 :: v_dual_fmamk_f32 v32, v56, 0xbf737871, v14
	v_dual_fmac_f32 v19, 0x3f737871, v37 :: v_dual_fmac_f32 v14, 0x3f737871, v56
	v_fmamk_f32 v26, v54, 0x3f737871, v20
	v_fmamk_f32 v33, v66, 0x3f737871, v15
	v_fmac_f32_e32 v15, 0xbf737871, v66
	v_dual_add_f32 v51, v51, v70 :: v_dual_add_f32 v60, v120, v121
	v_fmac_f32_e32 v20, 0xbf737871, v54
	v_fmac_f32_e32 v22, 0x3f167918, v36
	v_dual_fmac_f32 v18, 0xbf167918, v36 :: v_dual_fmac_f32 v23, 0xbf167918, v46
	v_dual_fmac_f32 v21, 0x3f167918, v66 :: v_dual_fmac_f32 v72, 0x3f167918, v75
	;; [unrolled: 1-line block ×4, first 2 shown]
	v_fmac_f32_e32 v73, 0xbf167918, v116
	v_fmac_f32_e32 v100, 0x3f167918, v116
	;; [unrolled: 1-line block ×3, first 2 shown]
	v_dual_fmac_f32 v24, 0x3f167918, v35 :: v_dual_fmac_f32 v19, 0x3f167918, v46
	v_dual_fmac_f32 v12, 0xbf167918, v35 :: v_dual_fmac_f32 v25, 0xbf167918, v37
	;; [unrolled: 1-line block ×3, first 2 shown]
	v_dual_add_f32 v52, v67, v68 :: v_dual_fmac_f32 v27, 0xbf167918, v66
	v_add_f32_e32 v36, v61, v44
	v_dual_fmac_f32 v32, 0x3f167918, v54 :: v_dual_fmac_f32 v15, 0x3f167918, v65
	v_dual_fmac_f32 v14, 0xbf167918, v54 :: v_dual_fmac_f32 v33, 0xbf167918, v65
	v_dual_add_f32 v35, v47, v49 :: v_dual_fmac_f32 v20, 0xbf167918, v56
	v_dual_add_f32 v37, v55, v57 :: v_dual_fmac_f32 v22, 0x3e9e377a, v122
	v_fmac_f32_e32 v23, 0x3e9e377a, v45
	v_dual_fmac_f32 v72, 0x3e9e377a, v53 :: v_dual_fmac_f32 v73, 0x3e9e377a, v59
	v_dual_fmac_f32 v99, 0x3e9e377a, v53 :: v_dual_fmac_f32 v28, 0x3e9e377a, v58
	;; [unrolled: 1-line block ×11, first 2 shown]
	ds_store_2addr_b64 v111, v[34:35], v[22:23] offset1:2
	ds_store_2addr_b64 v111, v[24:25], v[12:13] offset0:4 offset1:6
	ds_store_b64 v111, v[18:19] offset:64
	ds_store_2addr_b64 v110, v[36:37], v[26:27] offset1:2
	ds_store_2addr_b64 v110, v[32:33], v[14:15] offset0:4 offset1:6
	ds_store_b64 v110, v[20:21] offset:64
	s_and_saveexec_b32 s1, s0
	s_cbranch_execz .LBB0_11
; %bb.10:
	v_add_f32_e32 v8, v8, v17
	v_add_f32_e32 v9, v9, v41
	v_mul_u32_u24_e32 v12, 10, v104
	s_delay_alu instid0(VALU_DEP_3) | instskip(NEXT) | instid1(VALU_DEP_3)
	v_add_f32_e32 v8, v8, v16
	v_add_f32_e32 v9, v9, v40
	s_delay_alu instid0(VALU_DEP_3) | instskip(NEXT) | instid1(VALU_DEP_1)
	v_or_b32_e32 v12, v12, v103
	v_dual_add_f32 v8, v8, v11 :: v_dual_lshlrev_b32 v11, 3, v12
	s_delay_alu instid0(VALU_DEP_1) | instskip(NEXT) | instid1(VALU_DEP_1)
	v_dual_add_f32 v9, v9, v39 :: v_dual_add_f32 v8, v8, v10
	v_add_f32_e32 v9, v9, v38
	ds_store_2addr_b64 v11, v[28:29], v[30:31] offset0:4 offset1:6
	ds_store_2addr_b64 v11, v[8:9], v[72:73] offset1:2
	ds_store_b64 v11, v[99:100] offset:64
.LBB0_11:
	s_wait_alu 0xfffe
	s_or_b32 exec_lo, exec_lo, s1
	v_and_b32_e32 v8, 0xff, v102
	global_wb scope:SCOPE_SE
	s_wait_dscnt 0x0
	s_barrier_signal -1
	s_barrier_wait -1
	global_inv scope:SCOPE_SE
	v_mul_lo_u16 v8, 0xcd, v8
	v_mad_co_u64_u32 v[60:61], null, 0x50, v102, s[2:3]
	s_delay_alu instid0(VALU_DEP_2) | instskip(NEXT) | instid1(VALU_DEP_1)
	v_lshrrev_b16 v41, 11, v8
	v_mul_lo_u16 v8, v41, 10
	s_delay_alu instid0(VALU_DEP_1) | instskip(NEXT) | instid1(VALU_DEP_1)
	v_sub_nc_u16 v8, v102, v8
	v_and_b32_e32 v40, 0xff, v8
	s_delay_alu instid0(VALU_DEP_1)
	v_mad_co_u64_u32 v[16:17], null, 0x50, v40, s[2:3]
	s_add_nc_u64 s[2:3], s[16:17], 0x25d0
	s_clause 0x4
	global_load_b128 v[24:27], v[16:17], off offset:64
	global_load_b128 v[20:23], v[16:17], off offset:80
	;; [unrolled: 1-line block ×5, first 2 shown]
	v_add_nc_u32_e32 v57, 0x1400, v101
	v_and_b32_e32 v49, 0xffff, v41
	ds_load_2addr_b64 v[32:35], v101 offset1:110
	ds_load_b64 v[53:54], v101 offset:8800
	ds_load_2addr_b64 v[45:48], v57 offset0:20 offset1:130
	v_add_nc_u32_e32 v58, 0xc00, v101
	s_wait_loadcnt_dscnt 0x200
	v_dual_mul_f32 v70, v46, v15 :: v_dual_add_nc_u32 v59, 0x1800, v101
	v_mul_f32_e32 v71, v45, v15
	ds_load_2addr_b64 v[41:44], v58 offset0:56 offset1:166
	v_add_nc_u32_e32 v56, 0x400, v101
	s_wait_loadcnt 0x0
	v_mul_f32_e32 v118, v53, v19
	v_mul_f32_e32 v117, v54, v19
	s_delay_alu instid0(VALU_DEP_2) | instskip(NEXT) | instid1(VALU_DEP_2)
	v_fmac_f32_e32 v118, v54, v18
	v_fma_f32 v53, v53, v18, -v117
	s_wait_dscnt 0x0
	v_mul_f32_e32 v67, v41, v23
	ds_load_2addr_b64 v[36:39], v56 offset0:92 offset1:202
	v_mul_f32_e32 v66, v42, v23
	v_mul_u32_u24_e32 v55, 0x6e, v49
	ds_load_2addr_b64 v[49:52], v59 offset0:112 offset1:222
	v_mul_f32_e32 v69, v43, v13
	v_fmac_f32_e32 v67, v42, v22
	global_wb scope:SCOPE_SE
	s_wait_dscnt 0x0
	s_barrier_signal -1
	s_barrier_wait -1
	global_inv scope:SCOPE_SE
	v_mul_f32_e32 v62, v37, v27
	v_mul_f32_e32 v63, v36, v27
	v_add_lshl_u32 v112, v55, v40, 3
	v_dual_mul_f32 v40, v35, v25 :: v_dual_mul_f32 v113, v50, v11
	v_mul_f32_e32 v55, v34, v25
	v_mul_f32_e32 v64, v39, v21
	v_dual_mul_f32 v65, v38, v21 :: v_dual_mul_f32 v114, v49, v11
	v_mul_f32_e32 v116, v51, v17
	s_delay_alu instid0(VALU_DEP_4) | instskip(SKIP_1) | instid1(VALU_DEP_4)
	v_dual_mul_f32 v68, v44, v13 :: v_dual_fmac_f32 v55, v35, v24
	v_dual_mul_f32 v74, v48, v9 :: v_dual_fmac_f32 v63, v37, v26
	;; [unrolled: 1-line block ×3, first 2 shown]
	v_mul_f32_e32 v115, v52, v17
	v_fma_f32 v34, v34, v24, -v40
	v_fma_f32 v35, v36, v26, -v62
	v_fma_f32 v36, v38, v20, -v64
	v_fmac_f32_e32 v65, v39, v20
	v_fma_f32 v37, v41, v22, -v66
	v_add_f32_e32 v42, v32, v34
	v_dual_fmac_f32 v69, v44, v12 :: v_dual_add_f32 v44, v34, v53
	v_dual_fmac_f32 v71, v46, v14 :: v_dual_fmac_f32 v116, v52, v16
	v_fma_f32 v41, v49, v10, -v113
	v_fma_f32 v38, v43, v12, -v68
	;; [unrolled: 1-line block ×4, first 2 shown]
	v_dual_fmac_f32 v75, v48, v8 :: v_dual_sub_f32 v34, v34, v53
	v_fma_f32 v50, v51, v16, -v115
	v_dual_add_f32 v43, v33, v55 :: v_dual_sub_f32 v46, v55, v118
	v_dual_add_f32 v45, v55, v118 :: v_dual_add_f32 v52, v36, v41
	v_dual_add_f32 v48, v63, v116 :: v_dual_sub_f32 v55, v36, v41
	v_dual_sub_f32 v51, v63, v116 :: v_dual_add_f32 v54, v65, v114
	v_dual_sub_f32 v62, v65, v114 :: v_dual_add_f32 v113, v38, v39
	v_dual_sub_f32 v74, v69, v71 :: v_dual_mul_f32 v119, 0xbf68dda4, v46
	v_dual_add_f32 v47, v35, v50 :: v_dual_add_f32 v64, v37, v40
	v_dual_sub_f32 v49, v35, v50 :: v_dual_sub_f32 v68, v37, v40
	v_sub_f32_e32 v66, v67, v75
	v_add_f32_e32 v70, v67, v75
	v_dual_sub_f32 v115, v38, v39 :: v_dual_mul_f32 v120, 0xbf68dda4, v34
	v_dual_add_f32 v35, v42, v35 :: v_dual_mul_f32 v124, 0xbf4178ce, v34
	v_dual_add_f32 v42, v43, v63 :: v_dual_mul_f32 v121, 0xbf7d64f0, v46
	v_mul_f32_e32 v43, 0xbf0a6770, v46
	v_mul_f32_e32 v63, 0xbf0a6770, v34
	v_dual_mul_f32 v125, 0xbf68dda4, v51 :: v_dual_mul_f32 v126, 0xbf68dda4, v49
	v_mul_f32_e32 v127, 0xbf4178ce, v51
	v_dual_mul_f32 v129, 0x3e903f40, v51 :: v_dual_mul_f32 v130, 0x3e903f40, v49
	v_dual_mul_f32 v131, 0x3f7d64f0, v51 :: v_dual_mul_f32 v132, 0x3f7d64f0, v49
	;; [unrolled: 1-line block ×4, first 2 shown]
	v_dual_add_f32 v117, v69, v71 :: v_dual_mul_f32 v122, 0xbf7d64f0, v34
	v_dual_mul_f32 v123, 0xbf4178ce, v46 :: v_dual_mul_f32 v128, 0xbf4178ce, v49
	v_dual_mul_f32 v46, 0xbe903f40, v46 :: v_dual_mul_f32 v153, 0xbe903f40, v115
	v_dual_mul_f32 v34, 0xbe903f40, v34 :: v_dual_add_f32 v35, v35, v36
	v_dual_mul_f32 v133, 0xbf7d64f0, v62 :: v_dual_mul_f32 v134, 0xbf7d64f0, v55
	v_dual_mul_f32 v135, 0x3e903f40, v62 :: v_dual_mul_f32 v136, 0x3e903f40, v55
	;; [unrolled: 1-line block ×3, first 2 shown]
	v_dual_mul_f32 v55, 0xbf4178ce, v55 :: v_dual_add_f32 v36, v42, v65
	v_fma_f32 v42, 0x3f575c64, v44, -v43
	v_dual_fmamk_f32 v65, v45, 0x3f575c64, v63 :: v_dual_fmamk_f32 v178, v54, 0x3f575c64, v140
	v_mul_f32_e32 v142, 0x3f7d64f0, v66
	v_fmac_f32_e32 v43, 0x3f575c64, v44
	v_fma_f32 v63, 0x3f575c64, v45, -v63
	v_fmamk_f32 v158, v45, 0x3ed4b147, v120
	v_fma_f32 v120, 0x3ed4b147, v45, -v120
	v_mul_f32_e32 v141, 0xbf4178ce, v66
	v_fma_f32 v159, 0xbe11bafb, v44, -v121
	v_mul_f32_e32 v143, 0xbf0a6770, v66
	v_fma_f32 v188, 0x3f575c64, v113, -v150
	v_fmac_f32_e32 v150, 0x3f575c64, v113
	v_dual_mul_f32 v144, 0xbe903f40, v66 :: v_dual_add_f32 v43, v32, v43
	v_dual_mul_f32 v66, 0x3f68dda4, v66 :: v_dual_add_f32 v63, v33, v63
	v_dual_mul_f32 v49, 0x3f0a6770, v49 :: v_dual_mul_f32 v154, 0x3f0a6770, v115
	v_dual_mul_f32 v62, 0xbf4178ce, v62 :: v_dual_mul_f32 v145, 0xbf4178ce, v68
	v_add_f32_e32 v42, v32, v42
	v_dual_mul_f32 v148, 0xbe903f40, v68 :: v_dual_mul_f32 v149, 0xbe903f40, v74
	v_fma_f32 v157, 0x3ed4b147, v44, -v119
	v_mul_f32_e32 v146, 0x3f7d64f0, v68
	v_fmac_f32_e32 v119, 0x3ed4b147, v44
	v_mul_f32_e32 v152, 0x3f68dda4, v74
	v_dual_fmamk_f32 v160, v45, 0xbe11bafb, v122 :: v_dual_fmac_f32 v121, 0xbe11bafb, v44
	v_mul_f32_e32 v156, 0x3f68dda4, v115
	v_fma_f32 v122, 0xbe11bafb, v45, -v122
	v_mul_f32_e32 v147, 0xbf0a6770, v68
	v_mul_f32_e32 v68, 0x3f68dda4, v68
	v_fma_f32 v161, 0xbf27a4f4, v44, -v123
	v_mul_f32_e32 v151, 0xbf4178ce, v74
	v_mul_f32_e32 v74, 0xbf7d64f0, v74
	v_dual_fmamk_f32 v162, v45, 0xbf27a4f4, v124 :: v_dual_fmac_f32 v123, 0xbf27a4f4, v44
	v_fma_f32 v124, 0xbf27a4f4, v45, -v124
	v_mul_f32_e32 v155, 0xbf4178ce, v115
	v_mul_f32_e32 v115, 0xbf7d64f0, v115
	v_fma_f32 v163, 0xbf75a155, v44, -v46
	v_fmamk_f32 v164, v45, 0xbf75a155, v34
	v_fmac_f32_e32 v46, 0xbf75a155, v44
	v_fma_f32 v34, 0xbf75a155, v45, -v34
	v_fma_f32 v183, 0x3ed4b147, v64, -v66
	v_dual_fmac_f32 v66, 0x3ed4b147, v64 :: v_dual_add_f32 v35, v35, v37
	v_fma_f32 v44, 0x3ed4b147, v47, -v125
	v_fmamk_f32 v45, v48, 0x3ed4b147, v126
	v_dual_fmac_f32 v125, 0x3ed4b147, v47 :: v_dual_fmamk_f32 v176, v54, 0x3ed4b147, v138
	v_fma_f32 v126, 0x3ed4b147, v48, -v126
	v_fma_f32 v165, 0xbf27a4f4, v47, -v127
	v_dual_fmamk_f32 v166, v48, 0xbf27a4f4, v128 :: v_dual_fmac_f32 v127, 0xbf27a4f4, v47
	v_fma_f32 v128, 0xbf27a4f4, v48, -v128
	v_fma_f32 v167, 0xbf75a155, v47, -v129
	v_dual_fmamk_f32 v168, v48, 0xbf75a155, v130 :: v_dual_fmac_f32 v129, 0xbf75a155, v47
	;; [unrolled: 3-line block ×3, first 2 shown]
	v_fma_f32 v132, 0xbe11bafb, v48, -v132
	v_fma_f32 v171, 0x3f575c64, v47, -v51
	v_fmamk_f32 v172, v48, 0x3f575c64, v49
	v_dual_fmac_f32 v51, 0x3f575c64, v47 :: v_dual_fmamk_f32 v192, v117, 0x3f575c64, v154
	v_fma_f32 v47, 0x3f575c64, v48, -v49
	v_fma_f32 v48, 0xbe11bafb, v52, -v133
	v_fmamk_f32 v49, v54, 0xbe11bafb, v134
	v_dual_fmac_f32 v133, 0xbe11bafb, v52 :: v_dual_fmamk_f32 v184, v70, 0xbe11bafb, v146
	v_fma_f32 v134, 0xbe11bafb, v54, -v134
	v_fma_f32 v173, 0xbf75a155, v52, -v135
	v_dual_fmamk_f32 v174, v54, 0xbf75a155, v136 :: v_dual_fmac_f32 v135, 0xbf75a155, v52
	v_fma_f32 v136, 0xbf75a155, v54, -v136
	v_fma_f32 v175, 0x3ed4b147, v52, -v137
	;; [unrolled: 1-line block ×4, first 2 shown]
	v_dual_fmac_f32 v139, 0x3f575c64, v52 :: v_dual_add_f32 v36, v36, v67
	v_fma_f32 v140, 0x3f575c64, v54, -v140
	v_fma_f32 v179, 0xbf27a4f4, v52, -v62
	v_fmac_f32_e32 v62, 0xbf27a4f4, v52
	v_fma_f32 v181, 0x3f575c64, v64, -v143
	v_fmac_f32_e32 v143, 0x3f575c64, v64
	v_fma_f32 v182, 0xbf75a155, v64, -v144
	v_dual_fmac_f32 v144, 0xbf75a155, v64 :: v_dual_add_f32 v123, v32, v123
	v_fma_f32 v146, 0xbe11bafb, v70, -v146
	v_fmamk_f32 v186, v70, 0xbf75a155, v148
	v_fma_f32 v148, 0xbf75a155, v70, -v148
	v_fmamk_f32 v187, v70, 0x3ed4b147, v68
	v_fma_f32 v68, 0x3ed4b147, v70, -v68
	v_fma_f32 v189, 0xbf27a4f4, v113, -v151
	v_fmac_f32_e32 v151, 0xbf27a4f4, v113
	v_fma_f32 v191, 0xbe11bafb, v113, -v74
	v_fmac_f32_e32 v74, 0xbe11bafb, v113
	v_fma_f32 v154, 0x3f575c64, v117, -v154
	v_fmamk_f32 v194, v117, 0x3ed4b147, v156
	v_fma_f32 v156, 0x3ed4b147, v117, -v156
	v_fmamk_f32 v195, v117, 0xbe11bafb, v115
	v_fma_f32 v115, 0xbe11bafb, v117, -v115
	v_add_f32_e32 v65, v33, v65
	v_fma_f32 v180, 0xbe11bafb, v64, -v142
	v_dual_fmac_f32 v142, 0xbe11bafb, v64 :: v_dual_add_f32 v119, v32, v119
	v_fmac_f32_e32 v137, 0x3ed4b147, v52
	v_dual_fmamk_f32 v52, v54, 0xbf27a4f4, v55 :: v_dual_add_f32 v121, v32, v121
	v_fma_f32 v54, 0xbf27a4f4, v54, -v55
	v_fma_f32 v190, 0x3ed4b147, v113, -v152
	v_fmac_f32_e32 v152, 0x3ed4b147, v113
	v_add_f32_e32 v120, v33, v120
	v_fma_f32 v55, 0xbf27a4f4, v64, -v141
	v_fmac_f32_e32 v141, 0xbf27a4f4, v64
	v_dual_fmamk_f32 v64, v70, 0xbf27a4f4, v145 :: v_dual_add_f32 v37, v33, v164
	v_fma_f32 v145, 0xbf27a4f4, v70, -v145
	v_dual_add_f32 v122, v33, v122 :: v_dual_fmamk_f32 v185, v70, 0x3f575c64, v147
	v_fma_f32 v147, 0x3f575c64, v70, -v147
	v_fma_f32 v70, 0xbf75a155, v113, -v149
	v_fmac_f32_e32 v149, 0xbf75a155, v113
	v_fmamk_f32 v113, v117, 0xbf75a155, v153
	v_fma_f32 v153, 0xbf75a155, v117, -v153
	v_add_f32_e32 v124, v33, v124
	v_fmamk_f32 v193, v117, 0xbf27a4f4, v155
	v_fma_f32 v155, 0xbf27a4f4, v117, -v155
	v_add_f32_e32 v117, v32, v157
	v_dual_add_f32 v157, v33, v158 :: v_dual_add_f32 v158, v32, v159
	v_dual_add_f32 v159, v33, v160 :: v_dual_add_f32 v160, v32, v161
	;; [unrolled: 1-line block ×3, first 2 shown]
	v_add_f32_e32 v32, v32, v46
	v_dual_add_f32 v46, v127, v119 :: v_dual_add_f32 v33, v33, v34
	v_dual_add_f32 v34, v35, v38 :: v_dual_add_f32 v35, v36, v69
	v_add_f32_e32 v36, v44, v42
	v_add_f32_e32 v38, v45, v65
	;; [unrolled: 1-line block ×3, first 2 shown]
	v_dual_add_f32 v43, v126, v63 :: v_dual_add_f32 v44, v165, v117
	v_add_f32_e32 v63, v128, v120
	v_dual_add_f32 v67, v168, v159 :: v_dual_add_f32 v32, v51, v32
	v_dual_add_f32 v69, v129, v121 :: v_dual_add_f32 v34, v34, v39
	v_add_f32_e32 v45, v166, v157
	v_dual_add_f32 v65, v167, v158 :: v_dual_add_f32 v120, v170, v161
	;; [unrolled: 3-line block ×3, first 2 shown]
	v_dual_add_f32 v39, v133, v42 :: v_dual_add_f32 v48, v176, v67
	v_dual_add_f32 v42, v134, v43 :: v_dual_add_f32 v43, v173, v44
	s_delay_alu instid0(VALU_DEP_3)
	v_dual_add_f32 v38, v64, v38 :: v_dual_add_f32 v35, v35, v71
	v_add_f32_e32 v34, v34, v40
	v_dual_add_f32 v122, v132, v124 :: v_dual_add_f32 v123, v171, v162
	v_add_f32_e32 v44, v174, v45
	;; [unrolled: 2-line block ×3, first 2 shown]
	v_dual_add_f32 v45, v135, v46 :: v_dual_add_f32 v46, v136, v63
	v_dual_add_f32 v47, v175, v65 :: v_dual_add_f32 v40, v145, v42
	;; [unrolled: 1-line block ×4, first 2 shown]
	v_add_f32_e32 v63, v177, v119
	v_add_f32_e32 v65, v178, v120
	v_dual_add_f32 v67, v139, v121 :: v_dual_add_f32 v64, v66, v32
	v_dual_add_f32 v35, v35, v75 :: v_dual_add_f32 v32, v70, v36
	;; [unrolled: 1-line block ×3, first 2 shown]
	v_add_f32_e32 v37, v52, v37
	s_delay_alu instid0(VALU_DEP_4)
	v_dual_add_f32 v33, v54, v33 :: v_dual_add_f32 v54, v144, v67
	v_dual_add_f32 v39, v141, v39 :: v_dual_add_f32 v36, v188, v42
	;; [unrolled: 1-line block ×6, first 2 shown]
	v_add_f32_e32 v49, v147, v51
	v_add_f32_e32 v51, v182, v63
	;; [unrolled: 1-line block ×6, first 2 shown]
	v_dual_add_f32 v65, v68, v33 :: v_dual_add_f32 v34, v149, v39
	v_dual_add_f32 v37, v192, v43 :: v_dual_add_f32 v42, v151, v48
	v_add_f32_e32 v39, v154, v45
	v_add_f32_e32 v45, v194, v52
	v_dual_add_f32 v52, v66, v50 :: v_dual_add_f32 v35, v153, v40
	v_add_f32_e32 v40, v189, v46
	v_add_f32_e32 v46, v152, v54
	;; [unrolled: 3-line block ×3, first 2 shown]
	v_add_f32_e32 v44, v190, v51
	v_add_f32_e32 v41, v193, v47
	;; [unrolled: 1-line block ×7, first 2 shown]
	ds_store_2addr_b64 v112, v[36:37], v[40:41] offset0:20 offset1:30
	v_dual_add_f32 v36, v52, v53 :: v_dual_add_f32 v37, v54, v118
	ds_store_2addr_b64 v112, v[44:45], v[48:49] offset0:40 offset1:50
	ds_store_2addr_b64 v112, v[50:51], v[46:47] offset0:60 offset1:70
	;; [unrolled: 1-line block ×3, first 2 shown]
	ds_store_b64 v112, v[34:35] offset:800
	ds_store_2addr_b64 v112, v[36:37], v[32:33] offset1:10
	global_wb scope:SCOPE_SE
	s_wait_dscnt 0x0
	s_barrier_signal -1
	s_barrier_wait -1
	global_inv scope:SCOPE_SE
	s_clause 0x4
	global_load_b128 v[48:51], v[60:61], off offset:864
	global_load_b128 v[44:47], v[60:61], off offset:880
	;; [unrolled: 1-line block ×5, first 2 shown]
	ds_load_2addr_b64 v[52:55], v101 offset1:110
	ds_load_2addr_b64 v[113:116], v56 offset0:92 offset1:202
	ds_load_2addr_b64 v[117:120], v58 offset0:56 offset1:166
	;; [unrolled: 1-line block ×4, first 2 shown]
	ds_load_b64 v[129:130], v101 offset:8800
	s_wait_loadcnt_dscnt 0x405
	v_mul_f32_e32 v64, v55, v49
	s_wait_loadcnt_dscnt 0x304
	v_mul_f32_e32 v74, v115, v45
	s_wait_loadcnt_dscnt 0x101
	v_dual_mul_f32 v131, v54, v49 :: v_dual_mul_f32 v62, v125, v35
	v_dual_mul_f32 v132, v113, v51 :: v_dual_mul_f32 v67, v119, v37
	s_wait_loadcnt_dscnt 0x0
	v_dual_mul_f32 v138, v130, v43 :: v_dual_mul_f32 v135, v124, v33
	s_delay_alu instid0(VALU_DEP_3)
	v_fmac_f32_e32 v62, v126, v34
	v_mul_f32_e32 v60, v127, v41
	v_dual_mul_f32 v63, v123, v33 :: v_dual_fmac_f32 v74, v116, v44
	v_dual_mul_f32 v66, v114, v51 :: v_dual_mul_f32 v69, v116, v45
	v_mul_f32_e32 v134, v122, v39
	v_mul_f32_e32 v70, v118, v47
	v_dual_mul_f32 v68, v117, v47 :: v_dual_mul_f32 v133, v120, v37
	v_mul_f32_e32 v136, v126, v35
	v_fma_f32 v139, v54, v48, -v64
	v_dual_fmac_f32 v131, v55, v48 :: v_dual_fmac_f32 v132, v114, v50
	v_fma_f32 v54, v129, v42, -v138
	v_dual_fmac_f32 v60, v128, v40 :: v_dual_mul_f32 v61, v129, v43
	v_dual_fmac_f32 v63, v124, v32 :: v_dual_add_f32 v126, v74, v62
	v_dual_sub_f32 v124, v74, v62 :: v_dual_mul_f32 v137, v128, v41
	v_add_f32_e32 v116, v53, v131
	v_dual_mul_f32 v65, v121, v39 :: v_dual_fmac_f32 v68, v118, v46
	v_fma_f32 v140, v113, v50, -v66
	v_fma_f32 v75, v115, v44, -v69
	;; [unrolled: 1-line block ×4, first 2 shown]
	v_fmac_f32_e32 v67, v120, v36
	v_fma_f32 v69, v121, v38, -v134
	v_fma_f32 v66, v123, v32, -v135
	;; [unrolled: 1-line block ×3, first 2 shown]
	v_dual_sub_f32 v117, v139, v54 :: v_dual_add_f32 v120, v132, v60
	s_delay_alu instid0(VALU_DEP_4)
	v_sub_f32_e32 v134, v70, v69
	v_fmac_f32_e32 v61, v130, v42
	v_fmac_f32_e32 v65, v122, v38
	v_sub_f32_e32 v121, v140, v55
	v_sub_f32_e32 v122, v132, v60
	v_dual_sub_f32 v127, v68, v63 :: v_dual_mul_f32 v142, 0xbf4178ce, v117
	v_add_f32_e32 v114, v131, v61
	v_sub_f32_e32 v118, v131, v61
	v_dual_sub_f32 v129, v71, v66 :: v_dual_add_f32 v116, v116, v132
	v_fma_f32 v64, v125, v34, -v136
	v_dual_add_f32 v113, v139, v54 :: v_dual_add_f32 v130, v68, v63
	s_delay_alu instid0(VALU_DEP_4)
	v_dual_add_f32 v119, v140, v55 :: v_dual_mul_f32 v132, 0xbf0a6770, v118
	v_mul_f32_e32 v136, 0xbf0a6770, v117
	v_dual_mul_f32 v141, 0xbf4178ce, v118 :: v_dual_mul_f32 v146, 0xbf4178ce, v121
	v_fmamk_f32 v182, v114, 0xbf27a4f4, v142
	v_fma_f32 v142, 0xbf27a4f4, v114, -v142
	v_mul_f32_e32 v165, 0xbf0a6770, v129
	v_dual_add_f32 v115, v52, v139 :: v_dual_add_f32 v128, v71, v66
	v_fma_f32 v175, 0x3f575c64, v113, -v132
	s_delay_alu instid0(VALU_DEP_4) | instskip(NEXT) | instid1(VALU_DEP_4)
	v_add_f32_e32 v142, v53, v142
	v_dual_fmac_f32 v132, 0x3f575c64, v113 :: v_dual_fmamk_f32 v203, v130, 0x3f575c64, v165
	v_mul_f32_e32 v137, 0xbf68dda4, v118
	v_dual_add_f32 v123, v75, v64 :: v_dual_mul_f32 v138, 0xbf68dda4, v117
	v_sub_f32_e32 v125, v75, v64
	v_sub_f32_e32 v131, v67, v65
	v_dual_add_f32 v115, v115, v140 :: v_dual_mul_f32 v144, 0xbf68dda4, v121
	v_mul_f32_e32 v140, 0xbf7d64f0, v117
	v_dual_mul_f32 v117, 0xbe903f40, v117 :: v_dual_mul_f32 v162, 0xbe903f40, v127
	v_mul_f32_e32 v145, 0xbf4178ce, v122
	v_dual_mul_f32 v154, 0xbf0a6770, v124 :: v_dual_mul_f32 v161, 0xbf0a6770, v127
	v_fmamk_f32 v176, v114, 0x3f575c64, v136
	v_fma_f32 v136, 0x3f575c64, v114, -v136
	v_mul_f32_e32 v139, 0xbf7d64f0, v118
	v_mul_f32_e32 v118, 0xbe903f40, v118
	v_add_f32_e32 v132, v52, v132
	v_fma_f32 v177, 0x3ed4b147, v113, -v137
	v_dual_add_f32 v136, v53, v136 :: v_dual_mul_f32 v143, 0xbf68dda4, v122
	v_add_f32_e32 v133, v70, v69
	v_dual_add_f32 v135, v67, v65 :: v_dual_mul_f32 v152, 0x3e903f40, v124
	v_dual_mul_f32 v147, 0x3e903f40, v122 :: v_dual_mul_f32 v148, 0x3e903f40, v121
	v_dual_mul_f32 v149, 0x3f7d64f0, v122 :: v_dual_mul_f32 v150, 0x3f7d64f0, v121
	;; [unrolled: 1-line block ×3, first 2 shown]
	v_mul_f32_e32 v168, 0x3f0a6770, v131
	v_mul_f32_e32 v151, 0xbf7d64f0, v124
	v_dual_mul_f32 v153, 0x3f68dda4, v124 :: v_dual_mul_f32 v170, 0x3f68dda4, v131
	v_mul_f32_e32 v124, 0xbf4178ce, v124
	v_dual_mul_f32 v155, 0xbf7d64f0, v125 :: v_dual_add_f32 v74, v116, v74
	v_dual_mul_f32 v156, 0x3e903f40, v125 :: v_dual_add_f32 v75, v115, v75
	v_dual_mul_f32 v157, 0x3f68dda4, v125 :: v_dual_mul_f32 v174, 0x3f68dda4, v134
	v_mul_f32_e32 v158, 0xbf0a6770, v125
	v_dual_mul_f32 v166, 0xbe903f40, v129 :: v_dual_mul_f32 v167, 0xbe903f40, v131
	v_dual_mul_f32 v169, 0xbf4178ce, v131 :: v_dual_add_f32 v68, v74, v68
	v_dual_fmamk_f32 v178, v114, 0x3ed4b147, v138 :: v_dual_fmac_f32 v137, 0x3ed4b147, v113
	v_mul_f32_e32 v164, 0x3f7d64f0, v129
	v_mul_f32_e32 v172, 0x3f0a6770, v134
	v_fma_f32 v138, 0x3ed4b147, v114, -v138
	v_mul_f32_e32 v125, 0xbf4178ce, v125
	v_fma_f32 v179, 0xbe11bafb, v113, -v139
	v_mul_f32_e32 v163, 0xbf4178ce, v129
	v_dual_fmamk_f32 v180, v114, 0xbe11bafb, v140 :: v_dual_fmac_f32 v139, 0xbe11bafb, v113
	v_fma_f32 v140, 0xbe11bafb, v114, -v140
	v_mul_f32_e32 v159, 0xbf4178ce, v127
	v_fma_f32 v181, 0xbf27a4f4, v113, -v141
	v_fmac_f32_e32 v141, 0xbf27a4f4, v113
	v_fma_f32 v183, 0xbf75a155, v113, -v118
	v_dual_add_f32 v140, v53, v140 :: v_dual_mul_f32 v129, 0x3f68dda4, v129
	v_fmamk_f32 v184, v114, 0xbf75a155, v117
	v_mul_f32_e32 v131, 0xbf7d64f0, v131
	v_fmac_f32_e32 v118, 0xbf75a155, v113
	v_fma_f32 v113, 0xbf75a155, v114, -v117
	v_fma_f32 v114, 0x3ed4b147, v119, -v143
	v_mul_f32_e32 v171, 0xbe903f40, v134
	v_fma_f32 v185, 0xbf27a4f4, v119, -v145
	v_mul_f32_e32 v173, 0xbf4178ce, v134
	v_mul_f32_e32 v134, 0xbf7d64f0, v134
	v_fma_f32 v199, 0x3f575c64, v128, -v161
	v_fmac_f32_e32 v161, 0x3f575c64, v128
	v_mul_f32_e32 v160, 0x3f7d64f0, v127
	v_mul_f32_e32 v127, 0x3f68dda4, v127
	v_fmamk_f32 v117, v120, 0x3ed4b147, v144
	v_fmac_f32_e32 v143, 0x3ed4b147, v119
	v_fma_f32 v144, 0x3ed4b147, v120, -v144
	v_dual_fmamk_f32 v186, v120, 0xbf27a4f4, v146 :: v_dual_fmac_f32 v145, 0xbf27a4f4, v119
	v_fma_f32 v146, 0xbf27a4f4, v120, -v146
	v_fma_f32 v187, 0xbf75a155, v119, -v147
	v_dual_fmamk_f32 v188, v120, 0xbf75a155, v148 :: v_dual_fmac_f32 v147, 0xbf75a155, v119
	v_fma_f32 v148, 0xbf75a155, v120, -v148
	;; [unrolled: 3-line block ×3, first 2 shown]
	v_fma_f32 v191, 0x3f575c64, v119, -v122
	v_fmamk_f32 v192, v120, 0x3f575c64, v121
	v_dual_fmac_f32 v122, 0x3f575c64, v119 :: v_dual_add_f32 v141, v52, v141
	v_fma_f32 v119, 0x3f575c64, v120, -v121
	v_fma_f32 v120, 0xbe11bafb, v123, -v151
	v_fmac_f32_e32 v151, 0xbe11bafb, v123
	v_fma_f32 v121, 0xbf75a155, v123, -v152
	v_fmac_f32_e32 v152, 0xbf75a155, v123
	v_fma_f32 v193, 0x3ed4b147, v123, -v153
	v_dual_fmac_f32 v153, 0x3ed4b147, v123 :: v_dual_fmamk_f32 v212, v135, 0x3ed4b147, v174
	v_fma_f32 v194, 0x3f575c64, v123, -v154
	v_fmac_f32_e32 v154, 0x3f575c64, v123
	v_fma_f32 v195, 0xbf27a4f4, v123, -v124
	v_fmamk_f32 v115, v126, 0xbe11bafb, v155
	v_fma_f32 v116, 0xbe11bafb, v126, -v155
	v_fma_f32 v155, 0xbf75a155, v126, -v156
	v_dual_fmamk_f32 v196, v126, 0x3f575c64, v158 :: v_dual_add_f32 v139, v52, v139
	v_fma_f32 v158, 0x3f575c64, v126, -v158
	v_fma_f32 v198, 0xbe11bafb, v128, -v160
	v_fmac_f32_e32 v160, 0xbe11bafb, v128
	v_fma_f32 v200, 0xbf75a155, v128, -v162
	v_dual_fmac_f32 v162, 0xbf75a155, v128 :: v_dual_add_f32 v71, v75, v71
	v_fma_f32 v201, 0x3ed4b147, v128, -v127
	v_fma_f32 v165, 0x3f575c64, v130, -v165
	v_fmamk_f32 v205, v130, 0x3ed4b147, v129
	v_fma_f32 v129, 0x3ed4b147, v130, -v129
	v_fma_f32 v206, 0x3f575c64, v133, -v168
	;; [unrolled: 1-line block ×3, first 2 shown]
	v_fmac_f32_e32 v169, 0xbf27a4f4, v133
	v_fma_f32 v208, 0x3ed4b147, v133, -v170
	v_fmac_f32_e32 v170, 0x3ed4b147, v133
	v_dual_fmac_f32 v168, 0x3f575c64, v133 :: v_dual_add_f32 v75, v143, v132
	v_fmamk_f32 v211, v135, 0xbf27a4f4, v173
	v_fma_f32 v173, 0xbf27a4f4, v135, -v173
	v_fma_f32 v174, 0x3ed4b147, v135, -v174
	v_dual_fmamk_f32 v213, v135, 0xbe11bafb, v134 :: v_dual_add_f32 v142, v150, v142
	v_fma_f32 v134, 0xbe11bafb, v135, -v134
	v_dual_add_f32 v137, v52, v137 :: v_dual_fmamk_f32 v210, v135, 0x3f575c64, v172
	v_fma_f32 v172, 0x3f575c64, v135, -v172
	v_add_f32_e32 v138, v53, v138
	v_dual_fmac_f32 v124, 0xbf27a4f4, v123 :: v_dual_fmamk_f32 v197, v126, 0xbf27a4f4, v125
	v_dual_fmamk_f32 v123, v126, 0xbf75a155, v156 :: v_dual_add_f32 v70, v71, v70
	v_fmamk_f32 v156, v126, 0x3ed4b147, v157
	v_fma_f32 v157, 0x3ed4b147, v126, -v157
	v_fma_f32 v125, 0xbf27a4f4, v126, -v125
	;; [unrolled: 1-line block ×3, first 2 shown]
	v_fmac_f32_e32 v159, 0xbf27a4f4, v128
	v_dual_fmac_f32 v127, 0x3ed4b147, v128 :: v_dual_add_f32 v132, v146, v138
	v_dual_fmamk_f32 v128, v130, 0xbf27a4f4, v163 :: v_dual_add_f32 v67, v68, v67
	v_fma_f32 v163, 0xbf27a4f4, v130, -v163
	v_fmamk_f32 v204, v130, 0xbf75a155, v166
	v_fma_f32 v166, 0xbf75a155, v130, -v166
	v_add_f32_e32 v74, v53, v184
	v_fmamk_f32 v202, v130, 0xbe11bafb, v164
	v_fma_f32 v164, 0xbe11bafb, v130, -v164
	v_fma_f32 v130, 0xbf75a155, v133, -v167
	v_fmac_f32_e32 v167, 0xbf75a155, v133
	v_fma_f32 v209, 0xbe11bafb, v133, -v131
	v_fmac_f32_e32 v131, 0xbe11bafb, v133
	v_fmamk_f32 v133, v135, 0xbf75a155, v171
	v_fma_f32 v171, 0xbf75a155, v135, -v171
	v_add_f32_e32 v135, v52, v175
	v_dual_add_f32 v175, v53, v176 :: v_dual_add_f32 v176, v52, v177
	v_dual_add_f32 v177, v53, v178 :: v_dual_add_f32 v178, v52, v179
	;; [unrolled: 1-line block ×5, first 2 shown]
	v_add_f32_e32 v68, v114, v135
	v_add_f32_e32 v71, v117, v175
	;; [unrolled: 1-line block ×3, first 2 shown]
	v_dual_add_f32 v114, v185, v176 :: v_dual_add_f32 v117, v186, v177
	v_add_f32_e32 v74, v192, v74
	v_dual_add_f32 v118, v145, v137 :: v_dual_add_f32 v135, v187, v178
	v_dual_add_f32 v52, v122, v52 :: v_dual_add_f32 v141, v149, v141
	v_add_f32_e32 v136, v188, v179
	v_dual_add_f32 v137, v147, v139 :: v_dual_add_f32 v138, v148, v140
	;; [unrolled: 3-line block ×4, first 2 shown]
	v_dual_add_f32 v116, v193, v135 :: v_dual_add_f32 v69, v70, v69
	v_dual_add_f32 v70, v151, v75 :: v_dual_add_f32 v75, v121, v114
	v_add_f32_e32 v122, v154, v141
	v_dual_add_f32 v114, v152, v118 :: v_dual_add_f32 v115, v155, v132
	v_dual_add_f32 v53, v119, v53 :: v_dual_add_f32 v120, v194, v139
	;; [unrolled: 1-line block ×3, first 2 shown]
	v_add_f32_e32 v132, v195, v143
	v_add_f32_e32 v66, v69, v66
	;; [unrolled: 1-line block ×3, first 2 shown]
	v_dual_add_f32 v65, v126, v67 :: v_dual_add_f32 v124, v205, v74
	v_dual_add_f32 v67, v128, v68 :: v_dual_add_f32 v68, v159, v70
	v_add_f32_e32 v121, v196, v140
	v_add_f32_e32 v69, v163, v71
	v_dual_add_f32 v70, v198, v75 :: v_dual_add_f32 v119, v157, v138
	v_add_f32_e32 v71, v202, v113
	v_dual_add_f32 v113, v160, v114 :: v_dual_add_f32 v74, v167, v68
	v_dual_add_f32 v114, v164, v115 :: v_dual_add_f32 v123, v158, v142
	v_add_f32_e32 v115, v199, v116
	v_dual_add_f32 v116, v203, v117 :: v_dual_add_f32 v117, v161, v118
	v_add_f32_e32 v118, v165, v119
	v_add_f32_e32 v53, v125, v53
	v_add_f32_e32 v119, v200, v120
	v_dual_add_f32 v120, v204, v121 :: v_dual_add_f32 v125, v127, v52
	v_dual_add_f32 v127, v66, v64 :: v_dual_add_f32 v128, v63, v62
	v_add_f32_e32 v62, v206, v70
	v_dual_add_f32 v64, v168, v113 :: v_dual_add_f32 v121, v162, v122
	v_add_f32_e32 v68, v169, v117
	v_add_f32_e32 v122, v166, v123
	v_dual_add_f32 v66, v207, v115 :: v_dual_add_f32 v123, v201, v132
	v_add_f32_e32 v70, v208, v119
	v_add_f32_e32 v126, v129, v53
	;; [unrolled: 1-line block ×4, first 2 shown]
	v_dual_add_f32 v69, v128, v60 :: v_dual_add_f32 v60, v209, v123
	v_add_f32_e32 v55, v127, v55
	v_add_f32_e32 v53, v133, v67
	;; [unrolled: 1-line block ×4, first 2 shown]
	s_delay_alu instid0(VALU_DEP_4)
	v_dual_add_f32 v71, v212, v120 :: v_dual_add_f32 v54, v55, v54
	v_add_f32_e32 v55, v69, v61
	v_add_f32_e32 v61, v213, v124
	;; [unrolled: 1-line block ×4, first 2 shown]
	v_dual_add_f32 v114, v174, v122 :: v_dual_add_f32 v115, v131, v125
	v_add_f32_e32 v116, v134, v126
	v_add_f32_e32 v69, v173, v118
	ds_store_2addr_b64 v101, v[54:55], v[52:53] offset1:110
	ds_store_2addr_b64 v56, v[62:63], v[66:67] offset0:92 offset1:202
	ds_store_2addr_b64 v58, v[70:71], v[60:61] offset0:56 offset1:166
	;; [unrolled: 1-line block ×4, first 2 shown]
	ds_store_b64 v101, v[74:75] offset:8800
	global_wb scope:SCOPE_SE
	s_wait_dscnt 0x0
	s_barrier_signal -1
	s_barrier_wait -1
	global_inv scope:SCOPE_SE
	s_clause 0x9
	global_load_b64 v[60:61], v[77:78], off offset:9680
	global_load_b64 v[69:70], v101, s[2:3] offset:880
	global_load_b64 v[121:122], v101, s[2:3] offset:4840
	;; [unrolled: 1-line block ×9, first 2 shown]
	ds_load_2addr_b64 v[52:55], v101 offset1:110
	v_add_nc_u32_e32 v64, 0x1c00, v101
	s_wait_loadcnt_dscnt 0x900
	v_mul_f32_e32 v63, v53, v61
	v_mul_f32_e32 v62, v52, v61
	s_delay_alu instid0(VALU_DEP_2) | instskip(NEXT) | instid1(VALU_DEP_2)
	v_fma_f32 v61, v52, v60, -v63
	v_fmac_f32_e32 v62, v53, v60
	s_wait_loadcnt 0x8
	v_mul_f32_e32 v52, v55, v70
	ds_store_b64 v101, v[61:62]
	ds_load_2addr_b64 v[60:63], v58 offset0:56 offset1:221
	ds_load_2addr_b64 v[65:68], v57 offset0:75 offset1:185
	;; [unrolled: 1-line block ×4, first 2 shown]
	v_mul_f32_e32 v53, v54, v70
	v_fma_f32 v52, v54, v69, -v52
	v_add_nc_u32_e32 v71, 0x1000, v101
	s_wait_loadcnt_dscnt 0x703
	v_dual_mul_f32 v54, v63, v122 :: v_dual_add_nc_u32 v137, 0x800, v101
	s_wait_loadcnt_dscnt 0x602
	v_dual_mul_f32 v70, v65, v124 :: v_dual_fmac_f32 v53, v55, v69
	v_mul_f32_e32 v55, v62, v122
	v_mul_f32_e32 v69, v66, v124
	s_wait_loadcnt 0x4
	v_mul_f32_e32 v124, v67, v128
	s_wait_dscnt 0x1
	v_mul_f32_e32 v138, v114, v126
	v_dual_mul_f32 v122, v113, v126 :: v_dual_mul_f32 v139, v68, v128
	s_wait_loadcnt_dscnt 0x200
	v_dual_mul_f32 v126, v115, v130 :: v_dual_mul_f32 v141, v118, v132
	v_mul_f32_e32 v128, v117, v132
	v_mul_f32_e32 v140, v116, v130
	s_wait_loadcnt 0x1
	v_mul_f32_e32 v142, v61, v134
	v_fmac_f32_e32 v126, v116, v129
	v_mul_f32_e32 v130, v60, v134
	s_wait_loadcnt 0x0
	v_mul_f32_e32 v134, v120, v136
	v_mul_f32_e32 v132, v119, v136
	v_fma_f32 v54, v62, v121, -v54
	v_dual_fmac_f32 v55, v63, v121 :: v_dual_fmac_f32 v128, v118, v131
	v_fmac_f32_e32 v70, v66, v123
	v_fmac_f32_e32 v124, v68, v127
	v_fma_f32 v69, v65, v123, -v69
	v_fma_f32 v121, v113, v125, -v138
	v_fmac_f32_e32 v122, v114, v125
	v_fma_f32 v123, v67, v127, -v139
	v_fma_f32 v127, v117, v131, -v141
	v_fma_f32 v125, v115, v129, -v140
	v_fma_f32 v129, v60, v133, -v142
	v_fmac_f32_e32 v130, v61, v133
	v_fma_f32 v131, v119, v135, -v134
	v_fmac_f32_e32 v132, v120, v135
	ds_store_2addr_b64 v71, v[54:55], v[69:70] offset0:93 offset1:203
	ds_store_2addr_b64 v101, v[52:53], v[121:122] offset0:110 offset1:220
	;; [unrolled: 1-line block ×4, first 2 shown]
	ds_store_b64 v101, v[131:132] offset:8360
	s_and_saveexec_b32 s1, vcc_lo
	s_cbranch_execz .LBB0_13
; %bb.12:
	s_wait_alu 0xfffe
	v_add_co_u32 v52, s2, s2, v101
	s_wait_alu 0xf1ff
	v_add_co_ci_u32_e64 v53, null, s3, 0, s2
	s_clause 0x1
	global_load_b64 v[54:55], v[52:53], off offset:4400
	global_load_b64 v[52:53], v[52:53], off offset:9240
	ds_load_b64 v[59:60], v101 offset:4400
	ds_load_b64 v[61:62], v101 offset:9240
	s_wait_loadcnt_dscnt 0x101
	v_mul_f32_e32 v63, v60, v55
	s_wait_loadcnt_dscnt 0x0
	v_dual_mul_f32 v66, v59, v55 :: v_dual_mul_f32 v67, v62, v53
	v_mul_f32_e32 v55, v61, v53
	s_delay_alu instid0(VALU_DEP_3) | instskip(NEXT) | instid1(VALU_DEP_3)
	v_fma_f32 v65, v59, v54, -v63
	v_fmac_f32_e32 v66, v60, v54
	s_delay_alu instid0(VALU_DEP_4) | instskip(NEXT) | instid1(VALU_DEP_4)
	v_fma_f32 v54, v61, v52, -v67
	v_fmac_f32_e32 v55, v62, v52
	ds_store_b64 v101, v[65:66] offset:4400
	ds_store_b64 v101, v[54:55] offset:9240
.LBB0_13:
	s_wait_alu 0xfffe
	s_or_b32 exec_lo, exec_lo, s1
	global_wb scope:SCOPE_SE
	s_wait_dscnt 0x0
	s_barrier_signal -1
	s_barrier_wait -1
	global_inv scope:SCOPE_SE
	ds_load_2addr_b64 v[60:63], v101 offset1:110
	ds_load_2addr_b64 v[52:55], v58 offset0:56 offset1:221
	ds_load_2addr_b64 v[68:71], v57 offset0:75 offset1:185
	;; [unrolled: 1-line block ×4, first 2 shown]
	v_add_nc_u32_e32 v113, 0x14a0, v109
	v_add_nc_u32_e32 v109, 0x1b80, v109
	s_and_saveexec_b32 s1, vcc_lo
	s_cbranch_execz .LBB0_15
; %bb.14:
	ds_load_b64 v[74:75], v101 offset:4400
	ds_load_b64 v[72:73], v101 offset:9240
.LBB0_15:
	s_wait_alu 0xfffe
	s_or_b32 exec_lo, exec_lo, s1
	s_wait_dscnt 0x3
	v_dual_sub_f32 v116, v60, v54 :: v_dual_sub_f32 v117, v61, v55
	s_wait_dscnt 0x2
	v_dual_sub_f32 v120, v62, v68 :: v_dual_sub_f32 v121, v63, v69
	;; [unrolled: 2-line block ×3, first 2 shown]
	v_fma_f32 v114, v60, 2.0, -v116
	v_fma_f32 v115, v61, 2.0, -v117
	v_dual_sub_f32 v60, v58, v64 :: v_dual_sub_f32 v61, v59, v65
	v_dual_sub_f32 v64, v52, v66 :: v_dual_sub_f32 v65, v53, v67
	;; [unrolled: 1-line block ×3, first 2 shown]
	v_fma_f32 v118, v62, 2.0, -v120
	v_fma_f32 v119, v63, 2.0, -v121
	s_delay_alu instid0(VALU_DEP_4)
	v_fma_f32 v62, v52, 2.0, -v64
	v_fma_f32 v63, v53, 2.0, -v65
	;; [unrolled: 1-line block ×8, first 2 shown]
	global_wb scope:SCOPE_SE
	s_barrier_signal -1
	s_barrier_wait -1
	global_inv scope:SCOPE_SE
	ds_store_b128 v105, v[114:117]
	ds_store_b128 v107, v[118:121]
	;; [unrolled: 1-line block ×5, first 2 shown]
	s_and_saveexec_b32 s1, vcc_lo
	s_cbranch_execz .LBB0_17
; %bb.16:
	ds_store_b128 v106, v[52:55]
.LBB0_17:
	s_wait_alu 0xfffe
	s_or_b32 exec_lo, exec_lo, s1
	v_add_nc_u32_e32 v60, 0x400, v101
	v_add_nc_u32_e32 v61, 0xc00, v101
	;; [unrolled: 1-line block ×4, first 2 shown]
	global_wb scope:SCOPE_SE
	s_wait_dscnt 0x0
	s_barrier_signal -1
	s_barrier_wait -1
	global_inv scope:SCOPE_SE
	ds_load_2addr_b64 v[56:59], v101 offset1:110
	ds_load_2addr_b64 v[72:75], v60 offset0:114 offset1:224
	ds_load_2addr_b64 v[68:71], v61 offset0:100 offset1:210
	;; [unrolled: 1-line block ×4, first 2 shown]
	s_and_saveexec_b32 s1, s0
	s_cbranch_execz .LBB0_19
; %bb.18:
	v_add_nc_u32_e32 v28, 0x680, v101
	v_add_nc_u32_e32 v29, 0x1600, v101
	ds_load_2addr_b64 v[52:55], v28 offset0:12 offset1:254
	ds_load_2addr_b64 v[28:31], v29 offset1:242
	ds_load_b64 v[99:100], v101 offset:9504
.LBB0_19:
	s_wait_alu 0xfffe
	s_or_b32 exec_lo, exec_lo, s1
	s_wait_dscnt 0x2
	v_dual_mul_f32 v105, v5, v73 :: v_dual_mul_f32 v108, v7, v68
	v_dual_mul_f32 v106, v5, v72 :: v_dual_mul_f32 v107, v7, v69
	global_wb scope:SCOPE_SE
	s_wait_dscnt 0x0
	v_fmac_f32_e32 v105, v4, v72
	v_mul_f32_e32 v109, v3, v61
	v_fma_f32 v72, v4, v73, -v106
	v_mul_f32_e32 v73, v1, v65
	v_mul_f32_e32 v106, v1, v64
	v_fmac_f32_e32 v107, v6, v68
	v_fma_f32 v68, v6, v69, -v108
	v_mul_f32_e32 v108, v7, v71
	s_barrier_signal -1
	v_fma_f32 v69, v0, v65, -v106
	v_dual_mul_f32 v106, v5, v75 :: v_dual_fmac_f32 v109, v2, v60
	v_mul_f32_e32 v60, v3, v60
	v_dual_fmac_f32 v73, v0, v64 :: v_dual_mul_f32 v64, v5, v74
	v_mul_f32_e32 v65, v7, v70
	v_fmac_f32_e32 v108, v6, v70
	s_delay_alu instid0(VALU_DEP_4) | instskip(NEXT) | instid1(VALU_DEP_4)
	v_fma_f32 v113, v2, v61, -v60
	v_dual_add_f32 v60, v107, v73 :: v_dual_mul_f32 v61, v1, v66
	v_fma_f32 v114, v4, v75, -v64
	v_dual_mul_f32 v75, v1, v67 :: v_dual_fmac_f32 v106, v4, v74
	v_add_f32_e32 v64, v56, v105
	v_fma_f32 v115, v6, v71, -v65
	v_fma_f32 v60, -0.5, v60, v56
	v_sub_f32_e32 v65, v72, v113
	v_dual_fmac_f32 v75, v0, v66 :: v_dual_sub_f32 v70, v109, v73
	v_sub_f32_e32 v66, v105, v107
	v_mul_f32_e32 v71, v3, v63
	v_fma_f32 v116, v0, v67, -v61
	v_dual_add_f32 v61, v64, v107 :: v_dual_fmamk_f32 v64, v65, 0xbf737871, v60
	s_delay_alu instid0(VALU_DEP_4) | instskip(NEXT) | instid1(VALU_DEP_4)
	v_dual_sub_f32 v67, v68, v69 :: v_dual_add_f32 v70, v66, v70
	v_dual_fmac_f32 v71, v2, v62 :: v_dual_add_f32 v74, v105, v109
	s_delay_alu instid0(VALU_DEP_3) | instskip(NEXT) | instid1(VALU_DEP_3)
	v_dual_mul_f32 v62, v3, v62 :: v_dual_add_f32 v61, v61, v73
	v_fmac_f32_e32 v64, 0xbf167918, v67
	s_barrier_wait -1
	s_delay_alu instid0(VALU_DEP_3) | instskip(NEXT) | instid1(VALU_DEP_3)
	v_fma_f32 v56, -0.5, v74, v56
	v_fma_f32 v117, v2, v63, -v62
	s_delay_alu instid0(VALU_DEP_3)
	v_dual_sub_f32 v63, v73, v109 :: v_dual_fmac_f32 v64, 0x3e9e377a, v70
	v_dual_add_f32 v74, v57, v72 :: v_dual_sub_f32 v73, v107, v73
	v_add_f32_e32 v62, v61, v109
	v_fmamk_f32 v66, v67, 0x3f737871, v56
	v_sub_f32_e32 v61, v107, v105
	v_fmac_f32_e32 v60, 0x3f737871, v65
	v_dual_fmac_f32 v56, 0xbf737871, v67 :: v_dual_sub_f32 v107, v113, v69
	s_delay_alu instid0(VALU_DEP_3) | instskip(NEXT) | instid1(VALU_DEP_3)
	v_dual_fmac_f32 v66, 0xbf167918, v65 :: v_dual_add_f32 v63, v61, v63
	v_dual_fmac_f32 v60, 0x3f167918, v67 :: v_dual_add_f32 v67, v74, v68
	v_sub_f32_e32 v74, v105, v109
	v_add_f32_e32 v118, v68, v69
	v_dual_fmac_f32 v56, 0x3f167918, v65 :: v_dual_sub_f32 v105, v72, v68
	s_delay_alu instid0(VALU_DEP_4) | instskip(NEXT) | instid1(VALU_DEP_3)
	v_dual_add_f32 v67, v67, v69 :: v_dual_fmac_f32 v60, 0x3e9e377a, v70
	v_fma_f32 v61, -0.5, v118, v57
	v_add_f32_e32 v70, v72, v113
	v_dual_fmac_f32 v66, 0x3e9e377a, v63 :: v_dual_sub_f32 v69, v69, v113
	global_inv scope:SCOPE_SE
	v_fmamk_f32 v65, v74, 0x3f737871, v61
	v_fma_f32 v57, -0.5, v70, v57
	v_dual_add_f32 v70, v105, v107 :: v_dual_sub_f32 v105, v114, v117
	s_delay_alu instid0(VALU_DEP_3) | instskip(NEXT) | instid1(VALU_DEP_1)
	v_fmac_f32_e32 v65, 0x3f167918, v73
	v_fmac_f32_e32 v65, 0x3e9e377a, v70
	v_dual_fmac_f32 v61, 0xbf737871, v74 :: v_dual_sub_f32 v68, v68, v72
	s_delay_alu instid0(VALU_DEP_1) | instskip(NEXT) | instid1(VALU_DEP_2)
	v_dual_add_f32 v72, v108, v75 :: v_dual_fmac_f32 v61, 0xbf167918, v73
	v_dual_fmac_f32 v56, 0x3e9e377a, v63 :: v_dual_add_f32 v69, v68, v69
	v_add_f32_e32 v63, v67, v113
	v_fmamk_f32 v67, v73, 0xbf737871, v57
	v_fmac_f32_e32 v57, 0x3f737871, v73
	v_fma_f32 v68, -0.5, v72, v58
	v_add_f32_e32 v73, v58, v106
	v_fmac_f32_e32 v61, 0x3e9e377a, v70
	v_fmac_f32_e32 v67, 0x3f167918, v74
	s_delay_alu instid0(VALU_DEP_4) | instskip(NEXT) | instid1(VALU_DEP_4)
	v_dual_sub_f32 v113, v116, v117 :: v_dual_fmamk_f32 v70, v105, 0xbf737871, v68
	v_add_f32_e32 v72, v73, v108
	s_delay_alu instid0(VALU_DEP_1) | instskip(SKIP_2) | instid1(VALU_DEP_3)
	v_dual_add_f32 v72, v72, v75 :: v_dual_sub_f32 v73, v115, v116
	v_fmac_f32_e32 v68, 0x3f737871, v105
	v_dual_fmac_f32 v57, 0xbf167918, v74 :: v_dual_sub_f32 v74, v106, v108
	v_dual_sub_f32 v107, v71, v75 :: v_dual_fmac_f32 v70, 0xbf167918, v73
	s_delay_alu instid0(VALU_DEP_3) | instskip(SKIP_1) | instid1(VALU_DEP_4)
	v_fmac_f32_e32 v68, 0x3f167918, v73
	v_fmac_f32_e32 v67, 0x3e9e377a, v69
	v_dual_fmac_f32 v57, 0x3e9e377a, v69 :: v_dual_add_f32 v72, v72, v71
	s_delay_alu instid0(VALU_DEP_4) | instskip(SKIP_3) | instid1(VALU_DEP_4)
	v_add_f32_e32 v74, v74, v107
	v_add_f32_e32 v109, v106, v71
	v_sub_f32_e32 v107, v108, v106
	v_dual_add_f32 v69, v115, v116 :: v_dual_sub_f32 v106, v106, v71
	v_fmac_f32_e32 v70, 0x3e9e377a, v74
	s_delay_alu instid0(VALU_DEP_4) | instskip(SKIP_3) | instid1(VALU_DEP_4)
	v_fma_f32 v58, -0.5, v109, v58
	v_dual_fmac_f32 v68, 0x3e9e377a, v74 :: v_dual_sub_f32 v109, v75, v71
	v_sub_f32_e32 v108, v108, v75
	v_fma_f32 v69, -0.5, v69, v59
	v_fmamk_f32 v74, v73, 0x3f737871, v58
	v_dual_fmac_f32 v58, 0xbf737871, v73 :: v_dual_add_f32 v73, v59, v114
	v_add_f32_e32 v107, v107, v109
	s_delay_alu instid0(VALU_DEP_4) | instskip(NEXT) | instid1(VALU_DEP_4)
	v_fmamk_f32 v71, v106, 0x3f737871, v69
	v_dual_fmac_f32 v74, 0xbf167918, v105 :: v_dual_sub_f32 v109, v115, v114
	s_delay_alu instid0(VALU_DEP_4) | instskip(NEXT) | instid1(VALU_DEP_2)
	v_dual_add_f32 v73, v73, v115 :: v_dual_fmac_f32 v58, 0x3f167918, v105
	v_dual_add_f32 v105, v114, v117 :: v_dual_fmac_f32 v74, 0x3e9e377a, v107
	v_fmac_f32_e32 v69, 0xbf737871, v106
	s_delay_alu instid0(VALU_DEP_3) | instskip(NEXT) | instid1(VALU_DEP_3)
	v_dual_add_f32 v73, v73, v116 :: v_dual_fmac_f32 v58, 0x3e9e377a, v107
	v_fmac_f32_e32 v59, -0.5, v105
	v_sub_f32_e32 v105, v114, v115
	v_sub_f32_e32 v107, v117, v116
	v_fmac_f32_e32 v71, 0x3f167918, v108
	v_fmac_f32_e32 v69, 0xbf167918, v108
	v_fmamk_f32 v75, v108, 0xbf737871, v59
	v_fmac_f32_e32 v59, 0x3f737871, v108
	v_add_f32_e32 v105, v105, v107
	v_add_f32_e32 v107, v109, v113
	;; [unrolled: 1-line block ×3, first 2 shown]
	v_fmac_f32_e32 v75, 0x3f167918, v106
	v_fmac_f32_e32 v59, 0xbf167918, v106
	;; [unrolled: 1-line block ×4, first 2 shown]
	s_delay_alu instid0(VALU_DEP_4) | instskip(NEXT) | instid1(VALU_DEP_4)
	v_fmac_f32_e32 v75, 0x3e9e377a, v107
	v_fmac_f32_e32 v59, 0x3e9e377a, v107
	ds_store_2addr_b64 v111, v[62:63], v[64:65] offset1:2
	ds_store_2addr_b64 v111, v[66:67], v[56:57] offset0:4 offset1:6
	ds_store_b64 v111, v[60:61] offset:64
	ds_store_2addr_b64 v110, v[72:73], v[70:71] offset1:2
	ds_store_2addr_b64 v110, v[74:75], v[58:59] offset0:4 offset1:6
	ds_store_b64 v110, v[68:69] offset:64
	s_and_saveexec_b32 s1, s0
	s_cbranch_execz .LBB0_21
; %bb.20:
	v_dual_mul_f32 v56, v5, v54 :: v_dual_mul_f32 v57, v3, v99
	v_dual_mul_f32 v58, v1, v30 :: v_dual_mul_f32 v59, v7, v28
	v_mul_f32_e32 v60, v5, v55
	s_delay_alu instid0(VALU_DEP_3) | instskip(SKIP_1) | instid1(VALU_DEP_4)
	v_fma_f32 v55, v4, v55, -v56
	v_dual_mul_f32 v56, v7, v29 :: v_dual_mul_f32 v61, v1, v31
	v_fma_f32 v29, v6, v29, -v59
	s_delay_alu instid0(VALU_DEP_3) | instskip(NEXT) | instid1(VALU_DEP_3)
	v_dual_add_f32 v1, v55, v53 :: v_dual_fmac_f32 v60, v4, v54
	v_dual_mul_f32 v54, v3, v100 :: v_dual_fmac_f32 v61, v0, v30
	v_fma_f32 v4, v0, v31, -v58
	s_delay_alu instid0(VALU_DEP_3) | instskip(NEXT) | instid1(VALU_DEP_3)
	v_dual_add_f32 v1, v29, v1 :: v_dual_fmac_f32 v56, v6, v28
	v_dual_add_f32 v3, v60, v52 :: v_dual_fmac_f32 v54, v2, v99
	v_fma_f32 v6, v2, v100, -v57
	s_delay_alu instid0(VALU_DEP_3) | instskip(NEXT) | instid1(VALU_DEP_3)
	v_add_f32_e32 v1, v4, v1
	v_dual_add_f32 v5, v29, v4 :: v_dual_add_f32 v0, v56, v3
	s_delay_alu instid0(VALU_DEP_4) | instskip(NEXT) | instid1(VALU_DEP_3)
	v_sub_f32_e32 v31, v60, v54
	v_dual_add_f32 v2, v55, v6 :: v_dual_add_f32 v1, v6, v1
	v_sub_f32_e32 v58, v6, v4
	s_delay_alu instid0(VALU_DEP_4) | instskip(NEXT) | instid1(VALU_DEP_3)
	v_add_f32_e32 v0, v61, v0
	v_fma_f32 v3, -0.5, v2, v53
	v_dual_sub_f32 v2, v29, v55 :: v_dual_fmac_f32 v53, -0.5, v5
	v_sub_f32_e32 v28, v56, v61
	s_delay_alu instid0(VALU_DEP_2) | instskip(SKIP_1) | instid1(VALU_DEP_3)
	v_dual_add_f32 v0, v54, v0 :: v_dual_fmamk_f32 v7, v31, 0xbf737871, v53
	v_sub_f32_e32 v30, v4, v6
	v_fmamk_f32 v5, v28, 0x3f737871, v3
	v_fmac_f32_e32 v3, 0xbf737871, v28
	v_sub_f32_e32 v57, v55, v29
	s_delay_alu instid0(VALU_DEP_4) | instskip(NEXT) | instid1(VALU_DEP_4)
	v_dual_fmac_f32 v53, 0x3f737871, v31 :: v_dual_add_f32 v2, v2, v30
	v_fmac_f32_e32 v5, 0xbf167918, v31
	s_delay_alu instid0(VALU_DEP_3) | instskip(SKIP_1) | instid1(VALU_DEP_4)
	v_dual_fmac_f32 v3, 0x3f167918, v31 :: v_dual_add_f32 v30, v57, v58
	v_fmac_f32_e32 v7, 0xbf167918, v28
	v_fmac_f32_e32 v53, 0x3f167918, v28
	v_dual_sub_f32 v28, v56, v60 :: v_dual_sub_f32 v31, v61, v54
	s_delay_alu instid0(VALU_DEP_4)
	v_fmac_f32_e32 v3, 0x3e9e377a, v2
	v_sub_f32_e32 v29, v29, v4
	v_add_f32_e32 v57, v56, v61
	v_fmac_f32_e32 v5, 0x3e9e377a, v2
	v_add_f32_e32 v2, v60, v54
	v_dual_fmac_f32 v7, 0x3e9e377a, v30 :: v_dual_sub_f32 v54, v54, v61
	v_fmac_f32_e32 v53, 0x3e9e377a, v30
	v_sub_f32_e32 v30, v55, v6
	s_delay_alu instid0(VALU_DEP_4) | instskip(SKIP_1) | instid1(VALU_DEP_2)
	v_fma_f32 v2, -0.5, v2, v52
	v_mul_u32_u24_e32 v55, 10, v104
	v_fmamk_f32 v4, v29, 0xbf737871, v2
	v_fmac_f32_e32 v52, -0.5, v57
	s_delay_alu instid0(VALU_DEP_2) | instskip(NEXT) | instid1(VALU_DEP_2)
	v_fmac_f32_e32 v4, 0x3f167918, v30
	v_fmamk_f32 v6, v30, 0x3f737871, v52
	v_add_f32_e32 v28, v28, v31
	v_dual_fmac_f32 v52, 0xbf737871, v30 :: v_dual_sub_f32 v31, v60, v56
	v_fmac_f32_e32 v2, 0x3f737871, v29
	s_delay_alu instid0(VALU_DEP_3) | instskip(NEXT) | instid1(VALU_DEP_3)
	v_fmac_f32_e32 v4, 0x3e9e377a, v28
	v_dual_fmac_f32 v52, 0xbf167918, v29 :: v_dual_add_f32 v31, v31, v54
	v_or_b32_e32 v54, v55, v103
	s_delay_alu instid0(VALU_DEP_4) | instskip(SKIP_1) | instid1(VALU_DEP_3)
	v_fmac_f32_e32 v2, 0xbf167918, v30
	v_fmac_f32_e32 v6, 0x3f167918, v29
	v_dual_fmac_f32 v52, 0x3e9e377a, v31 :: v_dual_lshlrev_b32 v29, 3, v54
	s_delay_alu instid0(VALU_DEP_3) | instskip(NEXT) | instid1(VALU_DEP_3)
	v_fmac_f32_e32 v2, 0x3e9e377a, v28
	v_fmac_f32_e32 v6, 0x3e9e377a, v31
	ds_store_2addr_b64 v29, v[0:1], v[52:53] offset1:2
	ds_store_2addr_b64 v29, v[2:3], v[4:5] offset0:4 offset1:6
	ds_store_b64 v29, v[6:7] offset:64
.LBB0_21:
	s_wait_alu 0xfffe
	s_or_b32 exec_lo, exec_lo, s1
	global_wb scope:SCOPE_SE
	s_wait_dscnt 0x0
	s_barrier_signal -1
	s_barrier_wait -1
	global_inv scope:SCOPE_SE
	ds_load_2addr_b64 v[4:7], v101 offset1:110
	v_add_nc_u32_e32 v0, 0x400, v101
	v_add_nc_u32_e32 v2, 0xc00, v101
	;; [unrolled: 1-line block ×3, first 2 shown]
	s_mov_b32 s2, 0xdfd760e6
	s_mov_b32 s3, 0x3f4b14bb
	s_wait_dscnt 0x0
	v_mul_f32_e32 v66, v25, v7
	v_mul_f32_e32 v25, v25, v6
	ds_load_2addr_b64 v[28:31], v0 offset0:92 offset1:202
	ds_load_2addr_b64 v[52:55], v2 offset0:56 offset1:166
	;; [unrolled: 1-line block ×3, first 2 shown]
	v_dual_fmac_f32 v66, v24, v6 :: v_dual_add_nc_u32 v3, 0x1800, v101
	ds_load_b64 v[64:65], v101 offset:8800
	ds_load_2addr_b64 v[60:63], v3 offset0:112 offset1:222
	v_fma_f32 v6, v24, v7, -v25
	global_wb scope:SCOPE_SE
	s_wait_dscnt 0x0
	s_barrier_signal -1
	s_barrier_wait -1
	global_inv scope:SCOPE_SE
	v_dual_mul_f32 v24, v27, v29 :: v_dual_mul_f32 v25, v21, v31
	v_mul_f32_e32 v7, v27, v28
	v_mul_f32_e32 v21, v21, v30
	;; [unrolled: 1-line block ×4, first 2 shown]
	v_fmac_f32_e32 v24, v26, v28
	v_fma_f32 v26, v26, v29, -v7
	v_fmac_f32_e32 v25, v20, v30
	v_fma_f32 v20, v20, v31, -v21
	;; [unrolled: 2-line block ×3, first 2 shown]
	v_mul_f32_e32 v7, v13, v54
	v_add_f32_e32 v22, v4, v66
	v_add_f32_e32 v23, v5, v6
	v_mul_f32_e32 v67, v13, v55
	v_mul_f32_e32 v13, v15, v57
	s_delay_alu instid0(VALU_DEP_2)
	v_fmac_f32_e32 v67, v12, v54
	v_fma_f32 v12, v12, v55, -v7
	v_mul_f32_e32 v7, v15, v56
	v_dual_add_f32 v15, v22, v24 :: v_dual_add_f32 v22, v23, v26
	v_mul_f32_e32 v23, v9, v59
	v_mul_f32_e32 v9, v9, v58
	s_delay_alu instid0(VALU_DEP_2) | instskip(NEXT) | instid1(VALU_DEP_2)
	v_fmac_f32_e32 v23, v8, v58
	v_fma_f32 v8, v8, v59, -v9
	v_mul_f32_e32 v9, v11, v61
	v_mul_f32_e32 v11, v11, v60
	s_delay_alu instid0(VALU_DEP_2) | instskip(NEXT) | instid1(VALU_DEP_2)
	v_fmac_f32_e32 v9, v10, v60
	v_fma_f32 v10, v10, v61, -v11
	v_mul_f32_e32 v11, v19, v64
	v_mul_f32_e32 v19, v19, v65
	s_delay_alu instid0(VALU_DEP_2) | instskip(NEXT) | instid1(VALU_DEP_2)
	v_fma_f32 v11, v18, v65, -v11
	v_fmac_f32_e32 v19, v18, v64
	s_delay_alu instid0(VALU_DEP_2) | instskip(NEXT) | instid1(VALU_DEP_2)
	v_add_f32_e32 v28, v6, v11
	v_add_f32_e32 v18, v66, v19
	s_delay_alu instid0(VALU_DEP_2)
	v_mul_f32_e32 v30, 0x3f575c64, v28
	v_fmac_f32_e32 v13, v14, v56
	v_fma_f32 v14, v14, v57, -v7
	v_dual_add_f32 v7, v15, v25 :: v_dual_mul_f32 v56, 0xbe11bafb, v28
	v_dual_add_f32 v15, v22, v20 :: v_dual_mul_f32 v22, v17, v63
	v_dual_mul_f32 v17, v17, v62 :: v_dual_mul_f32 v60, 0xbf27a4f4, v28
	s_delay_alu instid0(VALU_DEP_2) | instskip(NEXT) | instid1(VALU_DEP_2)
	v_fmac_f32_e32 v22, v16, v62
	v_fma_f32 v16, v16, v63, -v17
	v_sub_f32_e32 v17, v6, v11
	s_delay_alu instid0(VALU_DEP_2) | instskip(NEXT) | instid1(VALU_DEP_1)
	v_dual_add_f32 v7, v7, v27 :: v_dual_sub_f32 v64, v26, v16
	v_dual_mul_f32 v54, 0xbf7d64f0, v17 :: v_dual_add_f32 v7, v7, v67
	v_mul_f32_e32 v59, 0xbf4178ce, v17
	s_delay_alu instid0(VALU_DEP_2)
	v_fmamk_f32 v57, v18, 0xbe11bafb, v54
	v_fma_f32 v54, 0xbe11bafb, v18, -v54
	v_add_f32_e32 v15, v15, v21
	v_add_f32_e32 v7, v7, v13
	v_fmamk_f32 v61, v18, 0xbf27a4f4, v59
	v_fma_f32 v59, 0xbf27a4f4, v18, -v59
	s_delay_alu instid0(VALU_DEP_4) | instskip(NEXT) | instid1(VALU_DEP_3)
	v_dual_add_f32 v54, v4, v54 :: v_dual_add_f32 v15, v15, v12
	v_add_f32_e32 v61, v4, v61
	v_mul_f32_e32 v53, 0x3ed4b147, v28
	s_delay_alu instid0(VALU_DEP_3) | instskip(SKIP_2) | instid1(VALU_DEP_3)
	v_dual_mul_f32 v28, 0xbf75a155, v28 :: v_dual_add_f32 v15, v15, v14
	v_add_f32_e32 v7, v7, v23
	v_add_f32_e32 v59, v4, v59
	;; [unrolled: 1-line block ×3, first 2 shown]
	s_delay_alu instid0(VALU_DEP_3) | instskip(NEXT) | instid1(VALU_DEP_2)
	v_add_f32_e32 v7, v7, v9
	v_add_f32_e32 v15, v15, v10
	s_delay_alu instid0(VALU_DEP_2) | instskip(NEXT) | instid1(VALU_DEP_2)
	v_add_f32_e32 v6, v7, v22
	v_add_f32_e32 v7, v15, v16
	;; [unrolled: 1-line block ×3, first 2 shown]
	v_sub_f32_e32 v15, v66, v19
	v_dual_add_f32 v57, v4, v57 :: v_dual_mul_f32 v26, 0xbf68dda4, v64
	s_delay_alu instid0(VALU_DEP_3) | instskip(NEXT) | instid1(VALU_DEP_3)
	v_mul_f32_e32 v66, 0xbf75a155, v16
	v_fmamk_f32 v58, v15, 0x3f7d64f0, v56
	v_fmac_f32_e32 v56, 0xbf7d64f0, v15
	v_fmamk_f32 v62, v15, 0x3f4178ce, v60
	v_fmamk_f32 v65, v15, 0x3e903f40, v28
	v_fmac_f32_e32 v28, 0xbe903f40, v15
	v_dual_add_f32 v6, v6, v19 :: v_dual_fmamk_f32 v19, v15, 0x3f0a6770, v30
	v_fmac_f32_e32 v30, 0xbf0a6770, v15
	v_dual_add_f32 v56, v5, v56 :: v_dual_fmamk_f32 v55, v15, 0x3f68dda4, v53
	v_dual_add_f32 v62, v5, v62 :: v_dual_fmac_f32 v53, 0xbf68dda4, v15
	s_delay_alu instid0(VALU_DEP_3) | instskip(SKIP_1) | instid1(VALU_DEP_3)
	v_dual_add_f32 v30, v5, v30 :: v_dual_mul_f32 v29, 0xbf0a6770, v17
	v_dual_fmac_f32 v60, 0xbf4178ce, v15 :: v_dual_sub_f32 v15, v24, v22
	v_add_f32_e32 v53, v5, v53
	v_add_f32_e32 v55, v5, v55
	s_delay_alu instid0(VALU_DEP_4) | instskip(SKIP_2) | instid1(VALU_DEP_3)
	v_fmamk_f32 v31, v18, 0x3f575c64, v29
	v_fma_f32 v29, 0x3f575c64, v18, -v29
	v_add_f32_e32 v58, v5, v58
	v_dual_add_f32 v60, v5, v60 :: v_dual_add_f32 v31, v4, v31
	s_delay_alu instid0(VALU_DEP_3) | instskip(SKIP_3) | instid1(VALU_DEP_2)
	v_add_f32_e32 v29, v4, v29
	v_add_f32_e32 v7, v7, v11
	v_mul_f32_e32 v11, 0xbf68dda4, v17
	v_mul_f32_e32 v17, 0xbe903f40, v17
	v_fmamk_f32 v52, v18, 0x3ed4b147, v11
	v_fma_f32 v11, 0x3ed4b147, v18, -v11
	s_delay_alu instid0(VALU_DEP_3)
	v_fmamk_f32 v63, v18, 0xbf75a155, v17
	v_fma_f32 v17, 0xbf75a155, v18, -v17
	v_add_f32_e32 v18, v24, v22
	v_mul_f32_e32 v22, 0x3ed4b147, v16
	v_add_f32_e32 v52, v4, v52
	v_add_f32_e32 v11, v4, v11
	v_add_f32_e32 v63, v4, v63
	s_delay_alu instid0(VALU_DEP_4) | instskip(SKIP_2) | instid1(VALU_DEP_2)
	v_dual_add_f32 v4, v4, v17 :: v_dual_fmamk_f32 v17, v15, 0x3f68dda4, v22
	v_fmac_f32_e32 v22, 0xbf68dda4, v15
	v_add_f32_e32 v24, v5, v65
	v_add_f32_e32 v22, v22, v30
	v_fmamk_f32 v65, v18, 0x3ed4b147, v26
	v_fma_f32 v26, 0x3ed4b147, v18, -v26
	s_delay_alu instid0(VALU_DEP_1) | instskip(SKIP_2) | instid1(VALU_DEP_2)
	v_dual_add_f32 v26, v26, v29 :: v_dual_mul_f32 v29, 0x3e903f40, v64
	v_add_f32_e32 v19, v5, v19
	v_add_f32_e32 v5, v5, v28
	v_dual_mul_f32 v28, 0xbf4178ce, v64 :: v_dual_add_f32 v17, v17, v19
	s_delay_alu instid0(VALU_DEP_1) | instskip(SKIP_1) | instid1(VALU_DEP_2)
	v_fmamk_f32 v19, v18, 0xbf27a4f4, v28
	v_fma_f32 v28, 0xbf27a4f4, v18, -v28
	v_dual_add_f32 v19, v19, v52 :: v_dual_fmamk_f32 v52, v18, 0xbf75a155, v29
	v_fma_f32 v29, 0xbf75a155, v18, -v29
	s_delay_alu instid0(VALU_DEP_2) | instskip(NEXT) | instid1(VALU_DEP_1)
	v_dual_add_f32 v52, v52, v57 :: v_dual_mul_f32 v57, 0xbe11bafb, v16
	v_dual_add_f32 v29, v29, v54 :: v_dual_fmamk_f32 v54, v15, 0xbf7d64f0, v57
	s_delay_alu instid0(VALU_DEP_1)
	v_dual_fmac_f32 v57, 0x3f7d64f0, v15 :: v_dual_add_f32 v54, v54, v62
	v_add_f32_e32 v62, v25, v9
	v_add_f32_e32 v31, v65, v31
	v_mul_f32_e32 v65, 0xbf27a4f4, v16
	v_sub_f32_e32 v9, v25, v9
	v_dual_add_f32 v11, v28, v11 :: v_dual_mul_f32 v16, 0x3f575c64, v16
	s_delay_alu instid0(VALU_DEP_3) | instskip(SKIP_1) | instid1(VALU_DEP_2)
	v_fmamk_f32 v30, v15, 0x3f4178ce, v65
	v_fmac_f32_e32 v65, 0xbf4178ce, v15
	v_dual_add_f32 v30, v30, v55 :: v_dual_mul_f32 v55, 0x3f7d64f0, v64
	v_mul_f32_e32 v64, 0x3f0a6770, v64
	s_delay_alu instid0(VALU_DEP_3) | instskip(NEXT) | instid1(VALU_DEP_1)
	v_dual_add_f32 v28, v65, v53 :: v_dual_fmamk_f32 v53, v15, 0xbe903f40, v66
	v_dual_add_f32 v53, v53, v58 :: v_dual_fmamk_f32 v58, v18, 0xbe11bafb, v55
	v_fma_f32 v55, 0xbe11bafb, v18, -v55
	s_delay_alu instid0(VALU_DEP_2) | instskip(SKIP_1) | instid1(VALU_DEP_3)
	v_add_f32_e32 v58, v58, v61
	v_fmamk_f32 v61, v18, 0x3f575c64, v64
	v_add_f32_e32 v55, v55, v59
	v_sub_f32_e32 v59, v20, v10
	v_add_f32_e32 v10, v20, v10
	v_fma_f32 v18, 0x3f575c64, v18, -v64
	s_delay_alu instid0(VALU_DEP_2) | instskip(NEXT) | instid1(VALU_DEP_2)
	v_dual_add_f32 v57, v57, v60 :: v_dual_mul_f32 v20, 0xbe11bafb, v10
	v_add_f32_e32 v4, v18, v4
	v_dual_add_f32 v60, v61, v63 :: v_dual_fmamk_f32 v61, v15, 0xbf0a6770, v16
	v_fmac_f32_e32 v16, 0x3f0a6770, v15
	v_mul_f32_e32 v63, 0xbf7d64f0, v59
	v_mul_f32_e32 v18, 0x3e903f40, v59
	s_delay_alu instid0(VALU_DEP_3) | instskip(SKIP_4) | instid1(VALU_DEP_4)
	v_dual_add_f32 v24, v61, v24 :: v_dual_add_f32 v5, v16, v5
	v_fmamk_f32 v16, v9, 0x3f7d64f0, v20
	v_fmac_f32_e32 v66, 0x3e903f40, v15
	v_fma_f32 v25, 0xbe11bafb, v62, -v63
	v_fmac_f32_e32 v20, 0xbf7d64f0, v9
	v_dual_mul_f32 v61, 0x3f575c64, v10 :: v_dual_add_f32 v16, v16, v17
	v_fmamk_f32 v15, v62, 0xbe11bafb, v63
	v_fmamk_f32 v17, v62, 0xbf75a155, v18
	v_add_f32_e32 v25, v25, v26
	v_add_f32_e32 v20, v20, v22
	v_mul_f32_e32 v26, 0x3f68dda4, v59
	v_add_f32_e32 v15, v15, v31
	v_mul_f32_e32 v31, 0xbf75a155, v10
	v_fma_f32 v18, 0xbf75a155, v62, -v18
	v_add_f32_e32 v56, v66, v56
	s_delay_alu instid0(VALU_DEP_3) | instskip(SKIP_1) | instid1(VALU_DEP_4)
	v_fmamk_f32 v22, v9, 0xbe903f40, v31
	v_add_f32_e32 v17, v17, v19
	v_add_f32_e32 v11, v18, v11
	s_delay_alu instid0(VALU_DEP_3) | instskip(SKIP_4) | instid1(VALU_DEP_4)
	v_add_f32_e32 v19, v22, v30
	v_fmamk_f32 v22, v62, 0x3ed4b147, v26
	v_mul_f32_e32 v30, 0x3ed4b147, v10
	v_fma_f32 v26, 0x3ed4b147, v62, -v26
	v_mul_f32_e32 v10, 0xbf27a4f4, v10
	v_dual_add_f32 v22, v22, v52 :: v_dual_fmac_f32 v31, 0x3e903f40, v9
	s_delay_alu instid0(VALU_DEP_1) | instskip(SKIP_3) | instid1(VALU_DEP_3)
	v_add_f32_e32 v18, v31, v28
	v_mul_f32_e32 v28, 0xbf0a6770, v59
	v_fmamk_f32 v31, v9, 0xbf68dda4, v30
	v_fmac_f32_e32 v30, 0x3f68dda4, v9
	v_fmamk_f32 v52, v62, 0x3f575c64, v28
	v_add_f32_e32 v26, v26, v29
	s_delay_alu instid0(VALU_DEP_3) | instskip(SKIP_1) | instid1(VALU_DEP_4)
	v_dual_add_f32 v29, v30, v56 :: v_dual_fmamk_f32 v56, v9, 0x3f4178ce, v10
	v_fma_f32 v28, 0x3f575c64, v62, -v28
	v_add_f32_e32 v30, v52, v58
	v_dual_fmamk_f32 v52, v9, 0x3f0a6770, v61 :: v_dual_add_f32 v31, v31, v53
	s_delay_alu instid0(VALU_DEP_4) | instskip(NEXT) | instid1(VALU_DEP_4)
	v_dual_add_f32 v24, v56, v24 :: v_dual_fmac_f32 v61, 0xbf0a6770, v9
	v_add_f32_e32 v28, v28, v55
	v_mul_f32_e32 v53, 0xbf4178ce, v59
	v_add_f32_e32 v56, v27, v23
	v_fmac_f32_e32 v10, 0xbf4178ce, v9
	v_add_f32_e32 v55, v61, v57
	v_sub_f32_e32 v57, v21, v8
	v_add_f32_e32 v8, v21, v8
	v_add_f32_e32 v52, v52, v54
	v_fmamk_f32 v54, v62, 0xbf27a4f4, v53
	v_fma_f32 v53, 0xbf27a4f4, v62, -v53
	v_mul_f32_e32 v21, 0xbf4178ce, v57
	v_add_f32_e32 v5, v10, v5
	v_sub_f32_e32 v9, v27, v23
	v_mul_f32_e32 v23, 0xbf27a4f4, v8
	s_delay_alu instid0(VALU_DEP_4) | instskip(SKIP_2) | instid1(VALU_DEP_3)
	v_dual_add_f32 v4, v53, v4 :: v_dual_fmamk_f32 v27, v56, 0xbf27a4f4, v21
	v_fma_f32 v21, 0xbf27a4f4, v56, -v21
	v_mul_f32_e32 v10, 0x3f7d64f0, v57
	v_dual_add_f32 v54, v54, v60 :: v_dual_add_f32 v15, v27, v15
	s_delay_alu instid0(VALU_DEP_3) | instskip(SKIP_4) | instid1(VALU_DEP_4)
	v_add_f32_e32 v21, v21, v25
	v_fmamk_f32 v53, v9, 0x3f4178ce, v23
	v_fmac_f32_e32 v23, 0xbf4178ce, v9
	v_fmamk_f32 v27, v56, 0xbe11bafb, v10
	v_fma_f32 v10, 0xbe11bafb, v56, -v10
	v_add_f32_e32 v16, v53, v16
	s_delay_alu instid0(VALU_DEP_4) | instskip(NEXT) | instid1(VALU_DEP_1)
	v_dual_add_f32 v20, v23, v20 :: v_dual_mul_f32 v23, 0xbf0a6770, v57
	v_fmamk_f32 v58, v56, 0x3f575c64, v23
	v_fma_f32 v23, 0x3f575c64, v56, -v23
	v_add_f32_e32 v17, v27, v17
	s_delay_alu instid0(VALU_DEP_3) | instskip(NEXT) | instid1(VALU_DEP_3)
	v_dual_mul_f32 v27, 0x3f575c64, v8 :: v_dual_add_f32 v22, v58, v22
	v_add_f32_e32 v23, v23, v26
	v_mul_f32_e32 v53, 0xbe11bafb, v8
	s_delay_alu instid0(VALU_DEP_1) | instskip(SKIP_1) | instid1(VALU_DEP_2)
	v_fmamk_f32 v25, v9, 0xbf7d64f0, v53
	v_fmac_f32_e32 v53, 0x3f7d64f0, v9
	v_add_f32_e32 v19, v25, v19
	v_dual_add_f32 v25, v10, v11 :: v_dual_fmamk_f32 v10, v9, 0x3f0a6770, v27
	v_mul_f32_e32 v11, 0xbe903f40, v57
	s_delay_alu instid0(VALU_DEP_4) | instskip(NEXT) | instid1(VALU_DEP_1)
	v_dual_fmac_f32 v27, 0xbf0a6770, v9 :: v_dual_add_f32 v18, v53, v18
	v_dual_fmamk_f32 v53, v56, 0xbf75a155, v11 :: v_dual_add_f32 v26, v27, v29
	v_mul_f32_e32 v27, 0x3f68dda4, v57
	v_fma_f32 v11, 0xbf75a155, v56, -v11
	s_delay_alu instid0(VALU_DEP_2) | instskip(NEXT) | instid1(VALU_DEP_2)
	v_dual_add_f32 v30, v53, v30 :: v_dual_fmamk_f32 v53, v56, 0x3ed4b147, v27
	v_add_f32_e32 v28, v11, v28
	v_fma_f32 v11, 0x3ed4b147, v56, -v27
	v_dual_add_f32 v27, v12, v14 :: v_dual_sub_f32 v56, v67, v13
	s_delay_alu instid0(VALU_DEP_4) | instskip(SKIP_3) | instid1(VALU_DEP_3)
	v_add_f32_e32 v53, v53, v54
	v_dual_sub_f32 v54, v12, v14 :: v_dual_add_f32 v31, v10, v31
	v_mul_f32_e32 v10, 0xbf75a155, v8
	v_mul_f32_e32 v8, 0x3ed4b147, v8
	v_dual_add_f32 v57, v11, v4 :: v_dual_mul_f32 v12, 0xbe903f40, v54
	v_mul_f32_e32 v11, 0x3f0a6770, v54
	s_delay_alu instid0(VALU_DEP_4) | instskip(NEXT) | instid1(VALU_DEP_1)
	v_fmamk_f32 v29, v9, 0x3e903f40, v10
	v_dual_fmac_f32 v10, 0xbe903f40, v9 :: v_dual_add_f32 v29, v29, v52
	s_delay_alu instid0(VALU_DEP_1) | instskip(SKIP_3) | instid1(VALU_DEP_3)
	v_add_f32_e32 v52, v10, v55
	v_dual_fmamk_f32 v10, v9, 0xbf68dda4, v8 :: v_dual_add_f32 v55, v67, v13
	v_fmac_f32_e32 v8, 0x3f68dda4, v9
	v_mul_f32_e32 v9, 0xbf75a155, v27
	v_dual_mul_f32 v13, 0x3f575c64, v27 :: v_dual_add_f32 v24, v10, v24
	s_delay_alu instid0(VALU_DEP_4) | instskip(NEXT) | instid1(VALU_DEP_4)
	v_fmamk_f32 v10, v55, 0xbf75a155, v12
	v_add_f32_e32 v58, v8, v5
	s_delay_alu instid0(VALU_DEP_4)
	v_fmamk_f32 v5, v56, 0x3e903f40, v9
	v_fma_f32 v8, 0xbf75a155, v55, -v12
	v_fmamk_f32 v12, v56, 0xbf0a6770, v13
	v_add_f32_e32 v4, v10, v15
	v_fmamk_f32 v10, v55, 0x3f575c64, v11
	v_mul_f32_e32 v15, 0xbf4178ce, v54
	v_add_f32_e32 v5, v5, v16
	v_fma_f32 v14, 0x3f575c64, v55, -v11
	s_delay_alu instid0(VALU_DEP_4) | instskip(NEXT) | instid1(VALU_DEP_4)
	v_dual_fmac_f32 v13, 0x3f0a6770, v56 :: v_dual_add_f32 v10, v10, v17
	v_dual_fmamk_f32 v16, v55, 0xbf27a4f4, v15 :: v_dual_mul_f32 v17, 0xbf27a4f4, v27
	v_fmac_f32_e32 v9, 0xbe903f40, v56
	s_delay_alu instid0(VALU_DEP_4) | instskip(NEXT) | instid1(VALU_DEP_4)
	v_dual_add_f32 v11, v12, v19 :: v_dual_add_f32 v12, v14, v25
	v_add_f32_e32 v13, v13, v18
	s_delay_alu instid0(VALU_DEP_4)
	v_add_f32_e32 v14, v16, v22
	v_fmamk_f32 v16, v56, 0x3f4178ce, v17
	v_mul_f32_e32 v18, 0x3f68dda4, v54
	v_fma_f32 v19, 0xbf27a4f4, v55, -v15
	v_fmac_f32_e32 v17, 0xbf4178ce, v56
	v_dual_mul_f32 v25, 0xbe11bafb, v27 :: v_dual_add_f32 v8, v8, v21
	v_add_f32_e32 v9, v9, v20
	v_mul_f32_e32 v21, 0x3ed4b147, v27
	v_dual_add_f32 v15, v16, v31 :: v_dual_fmamk_f32 v20, v55, 0x3ed4b147, v18
	v_add_f32_e32 v17, v17, v26
	v_fma_f32 v22, 0x3ed4b147, v55, -v18
	v_fmamk_f32 v26, v56, 0x3f7d64f0, v25
	v_dual_add_f32 v16, v19, v23 :: v_dual_mul_f32 v23, 0xbf7d64f0, v54
	v_fmamk_f32 v19, v56, 0xbf68dda4, v21
	v_add_f32_e32 v18, v20, v30
	v_add_f32_e32 v20, v22, v28
	v_fmac_f32_e32 v21, 0x3f68dda4, v56
	v_fmamk_f32 v22, v55, 0xbe11bafb, v23
	v_fma_f32 v27, 0xbe11bafb, v55, -v23
	v_fmac_f32_e32 v25, 0xbf7d64f0, v56
	v_add_f32_e32 v19, v19, v29
	v_add_f32_e32 v23, v26, v24
	v_dual_add_f32 v22, v22, v53 :: v_dual_add_f32 v21, v21, v52
	s_delay_alu instid0(VALU_DEP_4)
	v_dual_add_f32 v24, v27, v57 :: v_dual_add_f32 v25, v25, v58
	ds_store_2addr_b64 v112, v[6:7], v[4:5] offset1:10
	ds_store_2addr_b64 v112, v[10:11], v[14:15] offset0:20 offset1:30
	ds_store_2addr_b64 v112, v[18:19], v[22:23] offset0:40 offset1:50
	;; [unrolled: 1-line block ×4, first 2 shown]
	ds_store_b64 v112, v[8:9] offset:800
	global_wb scope:SCOPE_SE
	s_wait_dscnt 0x0
	s_barrier_signal -1
	s_barrier_wait -1
	global_inv scope:SCOPE_SE
	ds_load_2addr_b64 v[4:7], v101 offset1:110
	ds_load_2addr_b64 v[8:11], v0 offset0:92 offset1:202
	ds_load_2addr_b64 v[12:15], v2 offset0:56 offset1:166
	;; [unrolled: 1-line block ×4, first 2 shown]
	ds_load_b64 v[24:25], v101 offset:8800
	s_wait_dscnt 0x5
	v_mul_f32_e32 v26, v49, v7
	s_wait_dscnt 0x4
	v_dual_mul_f32 v28, v51, v9 :: v_dual_mul_f32 v27, v49, v6
	s_delay_alu instid0(VALU_DEP_2) | instskip(NEXT) | instid1(VALU_DEP_2)
	v_dual_mul_f32 v29, v51, v8 :: v_dual_fmac_f32 v26, v48, v6
	v_fmac_f32_e32 v28, v50, v8
	v_mul_f32_e32 v8, v45, v11
	s_delay_alu instid0(VALU_DEP_4) | instskip(NEXT) | instid1(VALU_DEP_4)
	v_fma_f32 v6, v48, v7, -v27
	v_fma_f32 v9, v50, v9, -v29
	v_mul_f32_e32 v7, v45, v10
	s_wait_dscnt 0x3
	v_mul_f32_e32 v27, v47, v13
	v_dual_mul_f32 v29, v47, v12 :: v_dual_fmac_f32 v8, v44, v10
	v_mul_f32_e32 v10, v37, v15
	v_fma_f32 v11, v44, v11, -v7
	s_delay_alu instid0(VALU_DEP_4) | instskip(NEXT) | instid1(VALU_DEP_4)
	v_fmac_f32_e32 v27, v46, v12
	v_fma_f32 v12, v46, v13, -v29
	v_mul_f32_e32 v7, v37, v14
	s_wait_dscnt 0x2
	v_dual_fmac_f32 v10, v36, v14 :: v_dual_mul_f32 v13, v39, v17
	v_add_f32_e32 v14, v4, v26
	v_add_f32_e32 v29, v5, v6
	v_fma_f32 v15, v36, v15, -v7
	v_mul_f32_e32 v7, v39, v16
	v_fmac_f32_e32 v13, v38, v16
	v_add_f32_e32 v14, v14, v28
	v_add_f32_e32 v16, v29, v9
	v_mul_f32_e32 v29, v33, v19
	v_fma_f32 v17, v38, v17, -v7
	s_delay_alu instid0(VALU_DEP_4) | instskip(NEXT) | instid1(VALU_DEP_4)
	v_dual_mul_f32 v7, v33, v18 :: v_dual_add_f32 v14, v14, v8
	v_add_f32_e32 v16, v16, v11
	s_wait_dscnt 0x1
	v_dual_fmac_f32 v29, v32, v18 :: v_dual_mul_f32 v18, v35, v21
	s_delay_alu instid0(VALU_DEP_3) | instskip(NEXT) | instid1(VALU_DEP_3)
	v_fma_f32 v19, v32, v19, -v7
	v_dual_add_f32 v7, v14, v27 :: v_dual_add_f32 v14, v16, v12
	v_mul_f32_e32 v16, v35, v20
	s_wait_dscnt 0x0
	v_mul_f32_e32 v30, v43, v25
	v_fmac_f32_e32 v18, v34, v20
	v_mul_f32_e32 v20, v41, v23
	v_add_f32_e32 v14, v14, v15
	v_fma_f32 v16, v34, v21, -v16
	v_mul_f32_e32 v21, v43, v24
	v_fmac_f32_e32 v30, v42, v24
	v_fmac_f32_e32 v20, v40, v22
	v_add_f32_e32 v14, v14, v17
	v_mul_f32_e32 v22, v41, v22
	v_fma_f32 v21, v42, v25, -v21
	s_delay_alu instid0(VALU_DEP_3) | instskip(NEXT) | instid1(VALU_DEP_3)
	v_add_f32_e32 v14, v14, v19
	v_fma_f32 v22, v40, v23, -v22
	s_delay_alu instid0(VALU_DEP_3) | instskip(SKIP_1) | instid1(VALU_DEP_4)
	v_dual_sub_f32 v24, v6, v21 :: v_dual_add_f32 v7, v7, v10
	v_add_f32_e32 v23, v26, v30
	v_add_f32_e32 v14, v14, v16
	;; [unrolled: 1-line block ×3, first 2 shown]
	s_delay_alu instid0(VALU_DEP_4) | instskip(SKIP_1) | instid1(VALU_DEP_3)
	v_mul_f32_e32 v25, 0xbf0a6770, v24
	v_dual_add_f32 v7, v7, v13 :: v_dual_sub_f32 v46, v9, v22
	v_dual_add_f32 v9, v9, v22 :: v_dual_mul_f32 v32, 0x3f575c64, v31
	s_delay_alu instid0(VALU_DEP_2) | instskip(SKIP_1) | instid1(VALU_DEP_2)
	v_dual_mul_f32 v38, 0xbe11bafb, v31 :: v_dual_add_f32 v7, v7, v29
	v_dual_add_f32 v47, v28, v20 :: v_dual_mul_f32 v42, 0xbf27a4f4, v31
	v_dual_mul_f32 v36, 0xbf7d64f0, v24 :: v_dual_add_f32 v7, v7, v18
	s_delay_alu instid0(VALU_DEP_1) | instskip(SKIP_3) | instid1(VALU_DEP_4)
	v_dual_add_f32 v6, v7, v20 :: v_dual_add_f32 v7, v14, v22
	v_sub_f32_e32 v14, v26, v30
	v_fmamk_f32 v26, v23, 0x3f575c64, v25
	v_mul_f32_e32 v22, 0xbf68dda4, v46
	v_dual_add_f32 v6, v6, v30 :: v_dual_add_f32 v7, v7, v21
	s_delay_alu instid0(VALU_DEP_3)
	v_dual_fmamk_f32 v40, v14, 0x3f7d64f0, v38 :: v_dual_add_f32 v21, v4, v26
	v_fmamk_f32 v26, v14, 0x3f0a6770, v32
	v_fmac_f32_e32 v32, 0xbf0a6770, v14
	v_fmac_f32_e32 v38, 0xbf7d64f0, v14
	v_mul_f32_e32 v30, 0xbf68dda4, v24
	v_add_f32_e32 v40, v5, v40
	v_dual_add_f32 v26, v5, v26 :: v_dual_mul_f32 v33, 0x3ed4b147, v31
	v_dual_mul_f32 v31, 0xbf75a155, v31 :: v_dual_add_f32 v32, v5, v32
	v_dual_add_f32 v38, v5, v38 :: v_dual_fmamk_f32 v43, v14, 0x3f4178ce, v42
	s_delay_alu instid0(VALU_DEP_3)
	v_fmamk_f32 v35, v14, 0x3f68dda4, v33
	v_fmac_f32_e32 v33, 0xbf68dda4, v14
	v_fmac_f32_e32 v42, 0xbf4178ce, v14
	v_fmamk_f32 v45, v14, 0x3e903f40, v31
	v_dual_fmac_f32 v31, 0xbe903f40, v14 :: v_dual_sub_f32 v14, v28, v20
	v_fma_f32 v25, 0x3f575c64, v23, -v25
	v_mul_f32_e32 v20, 0x3ed4b147, v9
	v_fmamk_f32 v34, v23, 0x3ed4b147, v30
	v_fma_f32 v30, 0x3ed4b147, v23, -v30
	s_delay_alu instid0(VALU_DEP_4) | instskip(NEXT) | instid1(VALU_DEP_4)
	v_dual_add_f32 v42, v5, v42 :: v_dual_add_f32 v25, v4, v25
	v_fmamk_f32 v28, v14, 0x3f68dda4, v20
	s_delay_alu instid0(VALU_DEP_4) | instskip(SKIP_2) | instid1(VALU_DEP_4)
	v_dual_add_f32 v34, v4, v34 :: v_dual_fmamk_f32 v37, v23, 0xbe11bafb, v36
	v_fma_f32 v36, 0xbe11bafb, v23, -v36
	v_fmac_f32_e32 v20, 0xbf68dda4, v14
	v_add_f32_e32 v26, v28, v26
	v_mul_f32_e32 v28, 0xbf27a4f4, v9
	v_mul_f32_e32 v39, 0xbf4178ce, v24
	;; [unrolled: 1-line block ×3, first 2 shown]
	v_add_f32_e32 v30, v4, v30
	v_add_f32_e32 v36, v4, v36
	s_delay_alu instid0(VALU_DEP_4)
	v_dual_add_f32 v20, v20, v32 :: v_dual_fmamk_f32 v41, v23, 0xbf27a4f4, v39
	v_fma_f32 v39, 0xbf27a4f4, v23, -v39
	v_fmamk_f32 v44, v23, 0xbf75a155, v24
	v_fma_f32 v23, 0xbf75a155, v23, -v24
	v_fmamk_f32 v24, v47, 0x3ed4b147, v22
	v_fma_f32 v22, 0x3ed4b147, v47, -v22
	v_add_f32_e32 v39, v4, v39
	v_add_f32_e32 v44, v4, v44
	v_mul_f32_e32 v32, 0xbf75a155, v9
	v_add_f32_e32 v41, v4, v41
	v_add_f32_e32 v22, v22, v25
	;; [unrolled: 1-line block ×3, first 2 shown]
	v_mul_f32_e32 v25, 0x3e903f40, v46
	v_add_f32_e32 v37, v4, v37
	v_dual_add_f32 v4, v4, v23 :: v_dual_mul_f32 v23, 0xbf4178ce, v46
	v_add_f32_e32 v35, v5, v35
	s_delay_alu instid0(VALU_DEP_2) | instskip(SKIP_1) | instid1(VALU_DEP_2)
	v_dual_add_f32 v21, v24, v21 :: v_dual_fmamk_f32 v24, v47, 0xbf27a4f4, v23
	v_fma_f32 v23, 0xbf27a4f4, v47, -v23
	v_add_f32_e32 v24, v24, v34
	v_fmamk_f32 v34, v47, 0xbf75a155, v25
	s_delay_alu instid0(VALU_DEP_3) | instskip(SKIP_2) | instid1(VALU_DEP_3)
	v_dual_add_f32 v23, v23, v30 :: v_dual_fmamk_f32 v30, v14, 0xbe903f40, v32
	v_fma_f32 v25, 0xbf75a155, v47, -v25
	v_dual_fmac_f32 v32, 0x3e903f40, v14 :: v_dual_add_f32 v45, v5, v45
	v_add_f32_e32 v30, v30, v40
	s_delay_alu instid0(VALU_DEP_2) | instskip(SKIP_4) | instid1(VALU_DEP_4)
	v_dual_add_f32 v25, v25, v36 :: v_dual_add_f32 v32, v32, v38
	v_dual_add_f32 v43, v5, v43 :: v_dual_mul_f32 v36, 0x3f0a6770, v46
	v_add_f32_e32 v5, v5, v31
	v_fmamk_f32 v31, v14, 0x3f4178ce, v28
	v_fmac_f32_e32 v28, 0xbf4178ce, v14
	v_fmamk_f32 v40, v47, 0x3f575c64, v36
	v_fma_f32 v36, 0x3f575c64, v47, -v36
	s_delay_alu instid0(VALU_DEP_3) | instskip(SKIP_1) | instid1(VALU_DEP_1)
	v_add_f32_e32 v28, v28, v33
	v_dual_add_f32 v33, v34, v37 :: v_dual_mul_f32 v34, 0x3f7d64f0, v46
	v_dual_add_f32 v4, v36, v4 :: v_dual_fmamk_f32 v37, v47, 0xbe11bafb, v34
	v_fma_f32 v34, 0xbe11bafb, v47, -v34
	s_delay_alu instid0(VALU_DEP_1) | instskip(SKIP_4) | instid1(VALU_DEP_4)
	v_dual_add_f32 v34, v34, v39 :: v_dual_add_f32 v39, v40, v44
	v_sub_f32_e32 v40, v11, v16
	v_dual_add_f32 v11, v11, v16 :: v_dual_add_f32 v16, v8, v18
	v_add_f32_e32 v31, v31, v35
	v_mul_f32_e32 v35, 0xbe11bafb, v9
	v_dual_add_f32 v37, v37, v41 :: v_dual_mul_f32 v36, 0x3e903f40, v40
	v_sub_f32_e32 v8, v8, v18
	s_delay_alu instid0(VALU_DEP_3) | instskip(SKIP_1) | instid1(VALU_DEP_2)
	v_fmamk_f32 v38, v14, 0xbf7d64f0, v35
	v_mul_f32_e32 v9, 0x3f575c64, v9
	v_dual_fmac_f32 v35, 0x3f7d64f0, v14 :: v_dual_add_f32 v38, v38, v43
	s_delay_alu instid0(VALU_DEP_2) | instskip(SKIP_1) | instid1(VALU_DEP_1)
	v_fmamk_f32 v41, v14, 0xbf0a6770, v9
	v_fmac_f32_e32 v9, 0x3f0a6770, v14
	v_dual_mul_f32 v14, 0xbe11bafb, v11 :: v_dual_add_f32 v5, v9, v5
	s_delay_alu instid0(VALU_DEP_1) | instskip(NEXT) | instid1(VALU_DEP_1)
	v_fmamk_f32 v9, v8, 0x3f7d64f0, v14
	v_dual_fmac_f32 v14, 0xbf7d64f0, v8 :: v_dual_add_f32 v9, v9, v26
	v_fmamk_f32 v26, v16, 0xbf75a155, v36
	s_delay_alu instid0(VALU_DEP_2) | instskip(SKIP_3) | instid1(VALU_DEP_2)
	v_dual_add_f32 v14, v14, v20 :: v_dual_add_f32 v35, v35, v42
	v_mul_f32_e32 v42, 0xbf7d64f0, v40
	v_fma_f32 v36, 0xbf75a155, v16, -v36
	v_mul_f32_e32 v20, 0x3f68dda4, v40
	v_dual_add_f32 v24, v26, v24 :: v_dual_add_f32 v23, v36, v23
	v_mul_f32_e32 v36, 0xbf0a6770, v40
	v_mul_f32_e32 v40, 0xbf4178ce, v40
	v_dual_add_f32 v18, v41, v45 :: v_dual_fmamk_f32 v41, v16, 0xbe11bafb, v42
	s_delay_alu instid0(VALU_DEP_1) | instskip(SKIP_2) | instid1(VALU_DEP_2)
	v_add_f32_e32 v21, v41, v21
	v_fma_f32 v41, 0xbe11bafb, v16, -v42
	v_mul_f32_e32 v42, 0xbf75a155, v11
	v_add_f32_e32 v22, v41, v22
	s_delay_alu instid0(VALU_DEP_2) | instskip(SKIP_4) | instid1(VALU_DEP_4)
	v_fmamk_f32 v26, v8, 0xbe903f40, v42
	v_fmamk_f32 v41, v16, 0x3ed4b147, v20
	v_fma_f32 v20, 0x3ed4b147, v16, -v20
	v_mul_f32_e32 v43, 0x3ed4b147, v11
	v_fmac_f32_e32 v42, 0x3e903f40, v8
	v_dual_add_f32 v26, v26, v31 :: v_dual_add_f32 v31, v41, v33
	s_delay_alu instid0(VALU_DEP_4) | instskip(NEXT) | instid1(VALU_DEP_4)
	v_add_f32_e32 v20, v20, v25
	v_fmamk_f32 v33, v8, 0xbf68dda4, v43
	v_fmac_f32_e32 v43, 0x3f68dda4, v8
	v_add_f32_e32 v28, v42, v28
	s_delay_alu instid0(VALU_DEP_3)
	v_dual_add_f32 v30, v33, v30 :: v_dual_fmamk_f32 v33, v16, 0x3f575c64, v36
	v_fma_f32 v36, 0x3f575c64, v16, -v36
	v_mul_f32_e32 v41, 0x3f575c64, v11
	v_add_f32_e32 v25, v43, v32
	v_mul_f32_e32 v11, 0xbf27a4f4, v11
	v_add_f32_e32 v33, v33, v37
	v_fmamk_f32 v37, v16, 0xbf27a4f4, v40
	v_add_f32_e32 v34, v36, v34
	v_sub_f32_e32 v36, v12, v19
	v_fmamk_f32 v32, v8, 0x3f0a6770, v41
	v_dual_fmac_f32 v41, 0xbf0a6770, v8 :: v_dual_add_f32 v12, v12, v19
	v_add_f32_e32 v37, v37, v39
	v_add_f32_e32 v39, v27, v29
	v_mul_f32_e32 v19, 0xbf4178ce, v36
	v_fma_f32 v16, 0xbf27a4f4, v16, -v40
	v_dual_add_f32 v32, v32, v38 :: v_dual_add_f32 v35, v41, v35
	s_delay_alu instid0(VALU_DEP_2)
	v_add_f32_e32 v4, v16, v4
	v_fmamk_f32 v38, v8, 0x3f4178ce, v11
	v_dual_fmac_f32 v11, 0xbf4178ce, v8 :: v_dual_sub_f32 v8, v27, v29
	v_mul_f32_e32 v27, 0xbf27a4f4, v12
	v_fmamk_f32 v29, v39, 0xbf27a4f4, v19
	v_fma_f32 v19, 0xbf27a4f4, v39, -v19
	s_delay_alu instid0(VALU_DEP_4) | instskip(NEXT) | instid1(VALU_DEP_3)
	v_dual_add_f32 v5, v11, v5 :: v_dual_add_f32 v18, v38, v18
	v_dual_fmamk_f32 v11, v8, 0x3f4178ce, v27 :: v_dual_add_f32 v16, v29, v21
	v_mul_f32_e32 v21, 0x3f7d64f0, v36
	v_fmac_f32_e32 v27, 0xbf4178ce, v8
	v_add_f32_e32 v19, v19, v22
	s_delay_alu instid0(VALU_DEP_4)
	v_add_f32_e32 v9, v11, v9
	v_mul_f32_e32 v11, 0xbe11bafb, v12
	v_fmamk_f32 v29, v39, 0xbe11bafb, v21
	v_add_f32_e32 v14, v27, v14
	v_mul_f32_e32 v22, 0xbf0a6770, v36
	v_fma_f32 v21, 0xbe11bafb, v39, -v21
	s_delay_alu instid0(VALU_DEP_4) | instskip(NEXT) | instid1(VALU_DEP_3)
	v_dual_add_f32 v24, v29, v24 :: v_dual_fmamk_f32 v27, v8, 0xbf7d64f0, v11
	v_fmamk_f32 v29, v39, 0x3f575c64, v22
	s_delay_alu instid0(VALU_DEP_3) | instskip(NEXT) | instid1(VALU_DEP_3)
	v_add_f32_e32 v21, v21, v23
	v_dual_fmac_f32 v11, 0x3f7d64f0, v8 :: v_dual_add_f32 v26, v27, v26
	v_mul_f32_e32 v27, 0x3f575c64, v12
	s_delay_alu instid0(VALU_DEP_2) | instskip(SKIP_1) | instid1(VALU_DEP_3)
	v_dual_add_f32 v23, v11, v28 :: v_dual_add_f32 v28, v29, v31
	v_fma_f32 v22, 0x3f575c64, v39, -v22
	v_fmamk_f32 v29, v8, 0x3f0a6770, v27
	v_mul_f32_e32 v31, 0xbf75a155, v12
	v_mul_f32_e32 v11, 0xbe903f40, v36
	;; [unrolled: 1-line block ×3, first 2 shown]
	s_delay_alu instid0(VALU_DEP_4) | instskip(NEXT) | instid1(VALU_DEP_4)
	v_dual_add_f32 v20, v22, v20 :: v_dual_add_f32 v29, v29, v30
	v_fmamk_f32 v22, v8, 0x3e903f40, v31
	v_mul_f32_e32 v30, 0x3f68dda4, v36
	v_sub_f32_e32 v36, v15, v17
	v_fmamk_f32 v38, v39, 0xbf75a155, v11
	v_fmac_f32_e32 v31, 0xbe903f40, v8
	v_add_f32_e32 v22, v22, v32
	v_fmamk_f32 v32, v39, 0x3ed4b147, v30
	s_delay_alu instid0(VALU_DEP_1) | instskip(SKIP_4) | instid1(VALU_DEP_3)
	v_add_f32_e32 v32, v32, v37
	v_add_f32_e32 v17, v15, v17
	v_fma_f32 v15, 0x3ed4b147, v39, -v30
	v_dual_sub_f32 v30, v10, v13 :: v_dual_add_f32 v31, v31, v35
	v_add_f32_e32 v35, v10, v13
	v_dual_mul_f32 v10, 0xbf75a155, v17 :: v_dual_add_f32 v37, v15, v4
	v_fmac_f32_e32 v27, 0xbf0a6770, v8
	v_mul_f32_e32 v13, 0x3f575c64, v17
	s_delay_alu instid0(VALU_DEP_2) | instskip(SKIP_3) | instid1(VALU_DEP_1)
	v_add_f32_e32 v27, v27, v25
	v_add_f32_e32 v25, v38, v33
	v_fmamk_f32 v33, v8, 0xbf68dda4, v12
	v_fmac_f32_e32 v12, 0x3f68dda4, v8
	v_dual_add_f32 v38, v12, v5 :: v_dual_fmamk_f32 v5, v30, 0x3e903f40, v10
	v_fmac_f32_e32 v10, 0xbe903f40, v30
	v_fma_f32 v11, 0xbf75a155, v39, -v11
	v_mul_f32_e32 v39, 0xbf27a4f4, v17
	s_delay_alu instid0(VALU_DEP_4) | instskip(NEXT) | instid1(VALU_DEP_4)
	v_dual_mul_f32 v12, 0x3f0a6770, v36 :: v_dual_add_f32 v5, v5, v9
	v_add_f32_e32 v9, v10, v14
	s_delay_alu instid0(VALU_DEP_4) | instskip(SKIP_1) | instid1(VALU_DEP_2)
	v_dual_add_f32 v34, v11, v34 :: v_dual_mul_f32 v11, 0xbe903f40, v36
	v_mul_f32_e32 v14, 0xbf4178ce, v36
	v_fmamk_f32 v8, v35, 0xbf75a155, v11
	s_delay_alu instid0(VALU_DEP_1) | instskip(SKIP_2) | instid1(VALU_DEP_2)
	v_dual_fmamk_f32 v15, v35, 0xbf27a4f4, v14 :: v_dual_add_f32 v4, v8, v16
	v_fma_f32 v8, 0xbf75a155, v35, -v11
	v_fmamk_f32 v16, v30, 0x3f4178ce, v39
	v_dual_fmac_f32 v39, 0xbf4178ce, v30 :: v_dual_add_f32 v8, v8, v19
	v_fma_f32 v19, 0xbf27a4f4, v35, -v14
	s_delay_alu instid0(VALU_DEP_3) | instskip(SKIP_1) | instid1(VALU_DEP_3)
	v_dual_add_f32 v14, v15, v28 :: v_dual_add_f32 v15, v16, v29
	v_dual_add_f32 v33, v33, v18 :: v_dual_mul_f32 v18, 0x3f68dda4, v36
	v_add_f32_e32 v16, v19, v20
	v_fmamk_f32 v11, v35, 0x3f575c64, v12
	v_fma_f32 v12, 0x3f575c64, v35, -v12
	s_delay_alu instid0(VALU_DEP_4) | instskip(NEXT) | instid1(VALU_DEP_3)
	v_fma_f32 v20, 0x3ed4b147, v35, -v18
	v_dual_add_f32 v10, v11, v24 :: v_dual_fmamk_f32 v11, v30, 0xbf0a6770, v13
	s_delay_alu instid0(VALU_DEP_3) | instskip(NEXT) | instid1(VALU_DEP_3)
	v_dual_fmac_f32 v13, 0x3f0a6770, v30 :: v_dual_add_f32 v12, v12, v21
	v_dual_mul_f32 v21, 0x3ed4b147, v17 :: v_dual_add_f32 v20, v20, v34
	s_delay_alu instid0(VALU_DEP_3) | instskip(NEXT) | instid1(VALU_DEP_3)
	v_add_f32_e32 v11, v11, v26
	v_add_f32_e32 v13, v13, v23
	v_fmamk_f32 v23, v35, 0x3ed4b147, v18
	s_delay_alu instid0(VALU_DEP_4) | instskip(NEXT) | instid1(VALU_DEP_2)
	v_fmamk_f32 v19, v30, 0xbf68dda4, v21
	v_dual_fmac_f32 v21, 0x3f68dda4, v30 :: v_dual_add_f32 v18, v23, v25
	v_mul_f32_e32 v23, 0xbf7d64f0, v36
	s_delay_alu instid0(VALU_DEP_3) | instskip(NEXT) | instid1(VALU_DEP_2)
	v_add_f32_e32 v19, v19, v22
	v_dual_add_f32 v21, v21, v31 :: v_dual_fmamk_f32 v22, v35, 0xbe11bafb, v23
	v_fma_f32 v25, 0xbe11bafb, v35, -v23
	s_delay_alu instid0(VALU_DEP_2) | instskip(NEXT) | instid1(VALU_DEP_1)
	v_dual_add_f32 v22, v22, v32 :: v_dual_mul_f32 v17, 0xbe11bafb, v17
	v_fmamk_f32 v24, v30, 0x3f7d64f0, v17
	v_fmac_f32_e32 v17, 0xbf7d64f0, v30
	s_delay_alu instid0(VALU_DEP_2) | instskip(SKIP_1) | instid1(VALU_DEP_3)
	v_add_f32_e32 v23, v24, v33
	v_add_f32_e32 v24, v25, v37
	;; [unrolled: 1-line block ×4, first 2 shown]
	ds_store_2addr_b64 v101, v[6:7], v[4:5] offset1:110
	ds_store_2addr_b64 v0, v[10:11], v[14:15] offset0:92 offset1:202
	ds_store_2addr_b64 v2, v[18:19], v[22:23] offset0:56 offset1:166
	;; [unrolled: 1-line block ×4, first 2 shown]
	ds_store_b64 v101, v[8:9] offset:8800
	global_wb scope:SCOPE_SE
	s_wait_dscnt 0x0
	s_barrier_signal -1
	s_barrier_wait -1
	global_inv scope:SCOPE_SE
	ds_load_2addr_b64 v[3:6], v101 offset1:110
	ds_load_2addr_b64 v[11:14], v1 offset0:75 offset1:185
	v_mad_co_u64_u32 v[19:20], null, s6, v76, 0
	s_wait_dscnt 0x1
	v_mul_f32_e32 v7, v98, v4
	v_mul_f32_e32 v17, v98, v3
	;; [unrolled: 1-line block ×3, first 2 shown]
	s_wait_dscnt 0x0
	v_mul_f32_e32 v31, v80, v11
	v_mul_f32_e32 v35, v82, v13
	v_fmac_f32_e32 v7, v97, v3
	v_fma_f32 v4, v97, v4, -v17
	v_fmac_f32_e32 v29, v89, v5
	s_delay_alu instid0(VALU_DEP_3)
	v_cvt_f64_f32_e32 v[15:16], v7
	ds_load_2addr_b64 v[7:10], v2 offset0:56 offset1:221
	ds_load_2addr_b64 v[0:3], v0 offset0:92 offset1:202
	v_cvt_f64_f32_e32 v[23:24], v4
	v_cvt_f64_f32_e32 v[29:30], v29
	s_wait_dscnt 0x1
	v_mul_f32_e32 v17, v92, v10
	v_mul_f32_e32 v18, v92, v9
	s_wait_dscnt 0x0
	v_mul_f32_e32 v32, v88, v1
	v_dual_mul_f32 v33, v88, v0 :: v_dual_mul_f32 v36, v86, v3
	v_fmac_f32_e32 v17, v91, v9
	v_fma_f32 v4, v91, v10, -v18
	s_delay_alu instid0(VALU_DEP_4) | instskip(NEXT) | instid1(VALU_DEP_4)
	v_fmac_f32_e32 v32, v87, v0
	v_fma_f32 v33, v87, v1, -v33
	v_mul_f32_e32 v37, v86, v2
	v_cvt_f64_f32_e32 v[25:26], v17
	v_cvt_f64_f32_e32 v[27:28], v4
	v_dual_mul_f32 v4, v90, v5 :: v_dual_mul_f32 v5, v80, v12
	v_fmac_f32_e32 v36, v85, v2
	v_fma_f32 v37, v85, v3, -v37
	v_mul_f32_e32 v41, v94, v7
	s_wait_alu 0xfffe
	v_mul_f64_e32 v[21:22], s[2:3], v[15:16]
	v_add_nc_u32_e32 v15, 0x1c00, v101
	v_fma_f32 v4, v89, v6, -v4
	v_fma_f32 v6, v79, v12, -v31
	v_fmac_f32_e32 v5, v79, v11
	v_cvt_f64_f32_e32 v[31:32], v32
	ds_load_2addr_b64 v[15:18], v15 offset0:39 offset1:149
	v_cvt_f64_f32_e32 v[0:1], v4
	v_cvt_f64_f32_e32 v[11:12], v6
	v_mul_f32_e32 v6, v82, v14
	v_cvt_f64_f32_e32 v[4:5], v5
	v_cvt_f64_f32_e32 v[33:34], v33
	;; [unrolled: 1-line block ×3, first 2 shown]
	v_mul_f64_e32 v[23:24], s[2:3], v[23:24]
	v_fmac_f32_e32 v6, v81, v13
	v_fma_f32 v13, v81, v14, -v35
	v_cvt_f64_f32_e32 v[35:36], v36
	v_mad_co_u64_u32 v[9:10], null, s4, v102, 0
	s_delay_alu instid0(VALU_DEP_4) | instskip(NEXT) | instid1(VALU_DEP_4)
	v_cvt_f64_f32_e32 v[2:3], v6
	v_cvt_f64_f32_e32 v[13:14], v13
	s_wait_dscnt 0x0
	v_mul_f32_e32 v39, v84, v16
	v_mul_f32_e32 v6, v84, v15
	;; [unrolled: 1-line block ×4, first 2 shown]
	s_delay_alu instid0(VALU_DEP_4) | instskip(NEXT) | instid1(VALU_DEP_3)
	v_fmac_f32_e32 v39, v83, v15
	v_dual_mul_f32 v15, v94, v8 :: v_dual_fmac_f32 v42, v95, v17
	v_fma_f32 v6, v83, v16, -v6
	v_fma_f32 v8, v93, v8, -v41
	;; [unrolled: 1-line block ×3, first 2 shown]
	s_delay_alu instid0(VALU_DEP_4)
	v_fmac_f32_e32 v15, v93, v7
	v_cvt_f64_f32_e32 v[39:40], v39
	v_cvt_f64_f32_e32 v[6:7], v6
	;; [unrolled: 1-line block ×6, first 2 shown]
	v_mov_b32_e32 v8, v20
	v_mul_f64_e32 v[25:26], s[2:3], v[25:26]
	v_mul_f64_e32 v[27:28], s[2:3], v[27:28]
	;; [unrolled: 1-line block ×4, first 2 shown]
	v_mad_co_u64_u32 v[45:46], null, s7, v76, v[8:9]
	v_cvt_f32_f64_e32 v8, v[21:22]
	v_mul_f64_e32 v[21:22], s[2:3], v[29:30]
	v_mad_co_u64_u32 v[46:47], null, s5, v102, v[10:11]
	v_mul_f64_e32 v[11:12], s[2:3], v[11:12]
	v_mul_f64_e32 v[31:32], s[2:3], v[31:32]
	;; [unrolled: 1-line block ×5, first 2 shown]
	v_mov_b32_e32 v20, v45
	v_mul_f64_e32 v[35:36], s[2:3], v[35:36]
	v_mul_f64_e32 v[37:38], s[2:3], v[37:38]
	v_mov_b32_e32 v10, v46
	s_delay_alu instid0(VALU_DEP_4) | instskip(NEXT) | instid1(VALU_DEP_2)
	v_lshlrev_b64_e32 v[19:20], 3, v[19:20]
	v_lshlrev_b64_e32 v[29:30], 3, v[9:10]
	v_cvt_f32_f64_e32 v9, v[23:24]
	s_delay_alu instid0(VALU_DEP_3) | instskip(SKIP_1) | instid1(VALU_DEP_4)
	v_add_co_u32 v10, s0, s8, v19
	s_wait_alu 0xf1ff
	v_add_co_ci_u32_e64 v20, s0, s9, v20, s0
	v_mul_f64_e32 v[39:40], s[2:3], v[39:40]
	v_mul_f64_e32 v[6:7], s[2:3], v[6:7]
	;; [unrolled: 1-line block ×6, first 2 shown]
	v_add_co_u32 v19, s0, v10, v29
	s_wait_alu 0xf1ff
	v_add_co_ci_u32_e64 v20, s0, v20, v30, s0
	s_mul_u64 s[0:1], s[4:5], 0x25d
	v_cvt_f32_f64_e32 v23, v[25:26]
	v_cvt_f32_f64_e32 v24, v[27:28]
	s_wait_alu 0xfffe
	s_lshl_b64 s[6:7], s[0:1], 3
	v_cvt_f32_f64_e32 v21, v[21:22]
	v_cvt_f32_f64_e32 v22, v[0:1]
	s_wait_alu 0xfffe
	v_add_co_u32 v25, s0, v19, s6
	s_wait_alu 0xf1ff
	v_add_co_ci_u32_e64 v26, s0, s7, v20, s0
	v_cvt_f32_f64_e32 v0, v[4:5]
	v_cvt_f32_f64_e32 v1, v[11:12]
	s_movk_i32 s0, 0xfe11
	s_mov_b32 s1, -1
	v_cvt_f32_f64_e32 v10, v[31:32]
	s_wait_alu 0xfffe
	s_mul_u64 s[0:1], s[4:5], s[0:1]
	v_cvt_f32_f64_e32 v11, v[33:34]
	s_wait_alu 0xfffe
	s_lshl_b64 s[4:5], s[0:1], 3
	v_cvt_f32_f64_e32 v2, v[2:3]
	s_wait_alu 0xfffe
	v_add_co_u32 v4, s0, v25, s4
	s_wait_alu 0xf1ff
	v_add_co_ci_u32_e64 v5, s0, s5, v26, s0
	v_cvt_f32_f64_e32 v3, v[13:14]
	v_cvt_f32_f64_e32 v12, v[35:36]
	;; [unrolled: 1-line block ×3, first 2 shown]
	global_store_b64 v[19:20], v[8:9], off
	v_cvt_f32_f64_e32 v27, v[39:40]
	v_cvt_f32_f64_e32 v28, v[6:7]
	;; [unrolled: 1-line block ×5, first 2 shown]
	v_add_co_u32 v16, s0, v4, s6
	s_wait_alu 0xf1ff
	v_add_co_ci_u32_e64 v17, s0, s7, v5, s0
	v_cvt_f32_f64_e32 v15, v[43:44]
	s_delay_alu instid0(VALU_DEP_3) | instskip(SKIP_1) | instid1(VALU_DEP_3)
	v_add_co_u32 v29, s0, v16, s4
	s_wait_alu 0xf1ff
	v_add_co_ci_u32_e64 v30, s0, s5, v17, s0
	global_store_b64 v[25:26], v[23:24], off
	v_add_co_u32 v8, s0, v29, s6
	s_wait_alu 0xf1ff
	v_add_co_ci_u32_e64 v9, s0, s7, v30, s0
	global_store_b64 v[4:5], v[21:22], off
	;; [unrolled: 4-line block ×4, first 2 shown]
	v_add_co_u32 v16, s0, v4, s4
	s_wait_alu 0xf1ff
	v_add_co_ci_u32_e64 v17, s0, s5, v5, s0
	s_delay_alu instid0(VALU_DEP_2) | instskip(SKIP_1) | instid1(VALU_DEP_2)
	v_add_co_u32 v0, s0, v16, s6
	s_wait_alu 0xf1ff
	v_add_co_ci_u32_e64 v1, s0, s7, v17, s0
	global_store_b64 v[8:9], v[2:3], off
	global_store_b64 v[18:19], v[12:13], off
	;; [unrolled: 1-line block ×5, first 2 shown]
	s_and_b32 exec_lo, exec_lo, vcc_lo
	s_cbranch_execz .LBB0_23
; %bb.22:
	s_clause 0x1
	global_load_b64 v[2:3], v[77:78], off offset:4400
	global_load_b64 v[4:5], v[77:78], off offset:9240
	ds_load_b64 v[6:7], v101 offset:4400
	ds_load_b64 v[8:9], v101 offset:9240
	v_add_co_u32 v0, vcc_lo, v0, s4
	s_wait_alu 0xfffd
	v_add_co_ci_u32_e32 v1, vcc_lo, s5, v1, vcc_lo
	s_wait_loadcnt_dscnt 0x0
	v_dual_mul_f32 v10, v7, v3 :: v_dual_mul_f32 v11, v9, v5
	v_mul_f32_e32 v3, v6, v3
	s_delay_alu instid0(VALU_DEP_2) | instskip(NEXT) | instid1(VALU_DEP_3)
	v_dual_mul_f32 v5, v8, v5 :: v_dual_fmac_f32 v10, v6, v2
	v_fmac_f32_e32 v11, v8, v4
	s_delay_alu instid0(VALU_DEP_3) | instskip(NEXT) | instid1(VALU_DEP_3)
	v_fma_f32 v6, v2, v7, -v3
	v_fma_f32 v8, v4, v9, -v5
	s_delay_alu instid0(VALU_DEP_4) | instskip(NEXT) | instid1(VALU_DEP_3)
	v_cvt_f64_f32_e32 v[2:3], v10
	v_cvt_f64_f32_e32 v[4:5], v6
	;; [unrolled: 1-line block ×3, first 2 shown]
	s_delay_alu instid0(VALU_DEP_4) | instskip(NEXT) | instid1(VALU_DEP_4)
	v_cvt_f64_f32_e32 v[8:9], v8
	v_mul_f64_e32 v[2:3], s[2:3], v[2:3]
	s_delay_alu instid0(VALU_DEP_4) | instskip(NEXT) | instid1(VALU_DEP_4)
	v_mul_f64_e32 v[4:5], s[2:3], v[4:5]
	v_mul_f64_e32 v[6:7], s[2:3], v[6:7]
	s_delay_alu instid0(VALU_DEP_4) | instskip(NEXT) | instid1(VALU_DEP_4)
	v_mul_f64_e32 v[8:9], s[2:3], v[8:9]
	v_cvt_f32_f64_e32 v2, v[2:3]
	s_delay_alu instid0(VALU_DEP_4) | instskip(NEXT) | instid1(VALU_DEP_4)
	v_cvt_f32_f64_e32 v3, v[4:5]
	v_cvt_f32_f64_e32 v4, v[6:7]
	s_delay_alu instid0(VALU_DEP_4)
	v_cvt_f32_f64_e32 v5, v[8:9]
	v_add_co_u32 v6, vcc_lo, v0, s6
	s_wait_alu 0xfffd
	v_add_co_ci_u32_e32 v7, vcc_lo, s7, v1, vcc_lo
	global_store_b64 v[0:1], v[2:3], off
	global_store_b64 v[6:7], v[4:5], off
.LBB0_23:
	s_nop 0
	s_sendmsg sendmsg(MSG_DEALLOC_VGPRS)
	s_endpgm
	.section	.rodata,"a",@progbits
	.p2align	6, 0x0
	.amdhsa_kernel bluestein_single_back_len1210_dim1_sp_op_CI_CI
		.amdhsa_group_segment_fixed_size 9680
		.amdhsa_private_segment_fixed_size 0
		.amdhsa_kernarg_size 104
		.amdhsa_user_sgpr_count 2
		.amdhsa_user_sgpr_dispatch_ptr 0
		.amdhsa_user_sgpr_queue_ptr 0
		.amdhsa_user_sgpr_kernarg_segment_ptr 1
		.amdhsa_user_sgpr_dispatch_id 0
		.amdhsa_user_sgpr_private_segment_size 0
		.amdhsa_wavefront_size32 1
		.amdhsa_uses_dynamic_stack 0
		.amdhsa_enable_private_segment 0
		.amdhsa_system_sgpr_workgroup_id_x 1
		.amdhsa_system_sgpr_workgroup_id_y 0
		.amdhsa_system_sgpr_workgroup_id_z 0
		.amdhsa_system_sgpr_workgroup_info 0
		.amdhsa_system_vgpr_workitem_id 0
		.amdhsa_next_free_vgpr 214
		.amdhsa_next_free_sgpr 18
		.amdhsa_reserve_vcc 1
		.amdhsa_float_round_mode_32 0
		.amdhsa_float_round_mode_16_64 0
		.amdhsa_float_denorm_mode_32 3
		.amdhsa_float_denorm_mode_16_64 3
		.amdhsa_fp16_overflow 0
		.amdhsa_workgroup_processor_mode 1
		.amdhsa_memory_ordered 1
		.amdhsa_forward_progress 0
		.amdhsa_round_robin_scheduling 0
		.amdhsa_exception_fp_ieee_invalid_op 0
		.amdhsa_exception_fp_denorm_src 0
		.amdhsa_exception_fp_ieee_div_zero 0
		.amdhsa_exception_fp_ieee_overflow 0
		.amdhsa_exception_fp_ieee_underflow 0
		.amdhsa_exception_fp_ieee_inexact 0
		.amdhsa_exception_int_div_zero 0
	.end_amdhsa_kernel
	.text
.Lfunc_end0:
	.size	bluestein_single_back_len1210_dim1_sp_op_CI_CI, .Lfunc_end0-bluestein_single_back_len1210_dim1_sp_op_CI_CI
                                        ; -- End function
	.section	.AMDGPU.csdata,"",@progbits
; Kernel info:
; codeLenInByte = 16888
; NumSgprs: 20
; NumVgprs: 214
; ScratchSize: 0
; MemoryBound: 0
; FloatMode: 240
; IeeeMode: 1
; LDSByteSize: 9680 bytes/workgroup (compile time only)
; SGPRBlocks: 2
; VGPRBlocks: 26
; NumSGPRsForWavesPerEU: 20
; NumVGPRsForWavesPerEU: 214
; Occupancy: 7
; WaveLimiterHint : 1
; COMPUTE_PGM_RSRC2:SCRATCH_EN: 0
; COMPUTE_PGM_RSRC2:USER_SGPR: 2
; COMPUTE_PGM_RSRC2:TRAP_HANDLER: 0
; COMPUTE_PGM_RSRC2:TGID_X_EN: 1
; COMPUTE_PGM_RSRC2:TGID_Y_EN: 0
; COMPUTE_PGM_RSRC2:TGID_Z_EN: 0
; COMPUTE_PGM_RSRC2:TIDIG_COMP_CNT: 0
	.text
	.p2alignl 7, 3214868480
	.fill 96, 4, 3214868480
	.type	__hip_cuid_ac57d02aeb52fff5,@object ; @__hip_cuid_ac57d02aeb52fff5
	.section	.bss,"aw",@nobits
	.globl	__hip_cuid_ac57d02aeb52fff5
__hip_cuid_ac57d02aeb52fff5:
	.byte	0                               ; 0x0
	.size	__hip_cuid_ac57d02aeb52fff5, 1

	.ident	"AMD clang version 19.0.0git (https://github.com/RadeonOpenCompute/llvm-project roc-6.4.0 25133 c7fe45cf4b819c5991fe208aaa96edf142730f1d)"
	.section	".note.GNU-stack","",@progbits
	.addrsig
	.addrsig_sym __hip_cuid_ac57d02aeb52fff5
	.amdgpu_metadata
---
amdhsa.kernels:
  - .args:
      - .actual_access:  read_only
        .address_space:  global
        .offset:         0
        .size:           8
        .value_kind:     global_buffer
      - .actual_access:  read_only
        .address_space:  global
        .offset:         8
        .size:           8
        .value_kind:     global_buffer
      - .actual_access:  read_only
        .address_space:  global
        .offset:         16
        .size:           8
        .value_kind:     global_buffer
      - .actual_access:  read_only
        .address_space:  global
        .offset:         24
        .size:           8
        .value_kind:     global_buffer
      - .actual_access:  read_only
        .address_space:  global
        .offset:         32
        .size:           8
        .value_kind:     global_buffer
      - .offset:         40
        .size:           8
        .value_kind:     by_value
      - .address_space:  global
        .offset:         48
        .size:           8
        .value_kind:     global_buffer
      - .address_space:  global
        .offset:         56
        .size:           8
        .value_kind:     global_buffer
      - .address_space:  global
        .offset:         64
        .size:           8
        .value_kind:     global_buffer
      - .address_space:  global
        .offset:         72
        .size:           8
        .value_kind:     global_buffer
      - .offset:         80
        .size:           4
        .value_kind:     by_value
      - .address_space:  global
        .offset:         88
        .size:           8
        .value_kind:     global_buffer
      - .address_space:  global
        .offset:         96
        .size:           8
        .value_kind:     global_buffer
    .group_segment_fixed_size: 9680
    .kernarg_segment_align: 8
    .kernarg_segment_size: 104
    .language:       OpenCL C
    .language_version:
      - 2
      - 0
    .max_flat_workgroup_size: 110
    .name:           bluestein_single_back_len1210_dim1_sp_op_CI_CI
    .private_segment_fixed_size: 0
    .sgpr_count:     20
    .sgpr_spill_count: 0
    .symbol:         bluestein_single_back_len1210_dim1_sp_op_CI_CI.kd
    .uniform_work_group_size: 1
    .uses_dynamic_stack: false
    .vgpr_count:     214
    .vgpr_spill_count: 0
    .wavefront_size: 32
    .workgroup_processor_mode: 1
amdhsa.target:   amdgcn-amd-amdhsa--gfx1201
amdhsa.version:
  - 1
  - 2
...

	.end_amdgpu_metadata
